;; amdgpu-corpus repo=ROCm/rocFFT kind=compiled arch=gfx1201 opt=O3
	.text
	.amdgcn_target "amdgcn-amd-amdhsa--gfx1201"
	.amdhsa_code_object_version 6
	.protected	fft_rtc_back_len1440_factors_10_16_3_3_wgs_90_tpt_90_halfLds_half_op_CI_CI_unitstride_sbrr_dirReg ; -- Begin function fft_rtc_back_len1440_factors_10_16_3_3_wgs_90_tpt_90_halfLds_half_op_CI_CI_unitstride_sbrr_dirReg
	.globl	fft_rtc_back_len1440_factors_10_16_3_3_wgs_90_tpt_90_halfLds_half_op_CI_CI_unitstride_sbrr_dirReg
	.p2align	8
	.type	fft_rtc_back_len1440_factors_10_16_3_3_wgs_90_tpt_90_halfLds_half_op_CI_CI_unitstride_sbrr_dirReg,@function
fft_rtc_back_len1440_factors_10_16_3_3_wgs_90_tpt_90_halfLds_half_op_CI_CI_unitstride_sbrr_dirReg: ; @fft_rtc_back_len1440_factors_10_16_3_3_wgs_90_tpt_90_halfLds_half_op_CI_CI_unitstride_sbrr_dirReg
; %bb.0:
	s_clause 0x2
	s_load_b128 s[4:7], s[0:1], 0x0
	s_load_b128 s[8:11], s[0:1], 0x58
	;; [unrolled: 1-line block ×3, first 2 shown]
	v_mul_u32_u24_e32 v1, 0x2d9, v0
	v_mov_b32_e32 v8, 0
	s_delay_alu instid0(VALU_DEP_2) | instskip(NEXT) | instid1(VALU_DEP_1)
	v_lshrrev_b32_e32 v1, 16, v1
	v_dual_mov_b32 v1, 0 :: v_dual_add_nc_u32 v10, ttmp9, v1
	s_delay_alu instid0(VALU_DEP_3) | instskip(SKIP_2) | instid1(VALU_DEP_1)
	v_dual_mov_b32 v11, v8 :: v_dual_mov_b32 v2, 0
	s_wait_kmcnt 0x0
	v_cmp_lt_u64_e64 s2, s[6:7], 2
	s_and_b32 vcc_lo, exec_lo, s2
	s_cbranch_vccnz .LBB0_8
; %bb.1:
	s_load_b64 s[2:3], s[0:1], 0x10
	v_mov_b32_e32 v1, 0
	v_mov_b32_e32 v2, 0
	s_add_nc_u64 s[16:17], s[14:15], 8
	s_add_nc_u64 s[18:19], s[12:13], 8
	s_mov_b64 s[20:21], 1
	s_delay_alu instid0(VALU_DEP_1)
	v_dual_mov_b32 v5, v2 :: v_dual_mov_b32 v4, v1
	s_wait_kmcnt 0x0
	s_add_nc_u64 s[22:23], s[2:3], 8
	s_mov_b32 s3, 0
.LBB0_2:                                ; =>This Inner Loop Header: Depth=1
	s_load_b64 s[24:25], s[22:23], 0x0
                                        ; implicit-def: $vgpr6_vgpr7
	s_mov_b32 s2, exec_lo
	s_wait_kmcnt 0x0
	v_or_b32_e32 v9, s25, v11
	s_delay_alu instid0(VALU_DEP_1)
	v_cmpx_ne_u64_e32 0, v[8:9]
	s_wait_alu 0xfffe
	s_xor_b32 s26, exec_lo, s2
	s_cbranch_execz .LBB0_4
; %bb.3:                                ;   in Loop: Header=BB0_2 Depth=1
	s_cvt_f32_u32 s2, s24
	s_cvt_f32_u32 s27, s25
	s_sub_nc_u64 s[30:31], 0, s[24:25]
	s_wait_alu 0xfffe
	s_delay_alu instid0(SALU_CYCLE_1) | instskip(SKIP_1) | instid1(SALU_CYCLE_2)
	s_fmamk_f32 s2, s27, 0x4f800000, s2
	s_wait_alu 0xfffe
	v_s_rcp_f32 s2, s2
	s_delay_alu instid0(TRANS32_DEP_1) | instskip(SKIP_1) | instid1(SALU_CYCLE_2)
	s_mul_f32 s2, s2, 0x5f7ffffc
	s_wait_alu 0xfffe
	s_mul_f32 s27, s2, 0x2f800000
	s_wait_alu 0xfffe
	s_delay_alu instid0(SALU_CYCLE_2) | instskip(SKIP_1) | instid1(SALU_CYCLE_2)
	s_trunc_f32 s27, s27
	s_wait_alu 0xfffe
	s_fmamk_f32 s2, s27, 0xcf800000, s2
	s_cvt_u32_f32 s29, s27
	s_wait_alu 0xfffe
	s_delay_alu instid0(SALU_CYCLE_1) | instskip(SKIP_1) | instid1(SALU_CYCLE_2)
	s_cvt_u32_f32 s28, s2
	s_wait_alu 0xfffe
	s_mul_u64 s[34:35], s[30:31], s[28:29]
	s_wait_alu 0xfffe
	s_mul_hi_u32 s37, s28, s35
	s_mul_i32 s36, s28, s35
	s_mul_hi_u32 s2, s28, s34
	s_mul_i32 s33, s29, s34
	s_wait_alu 0xfffe
	s_add_nc_u64 s[36:37], s[2:3], s[36:37]
	s_mul_hi_u32 s27, s29, s34
	s_mul_hi_u32 s38, s29, s35
	s_add_co_u32 s2, s36, s33
	s_wait_alu 0xfffe
	s_add_co_ci_u32 s2, s37, s27
	s_mul_i32 s34, s29, s35
	s_add_co_ci_u32 s35, s38, 0
	s_wait_alu 0xfffe
	s_add_nc_u64 s[34:35], s[2:3], s[34:35]
	s_wait_alu 0xfffe
	v_add_co_u32 v3, s2, s28, s34
	s_delay_alu instid0(VALU_DEP_1) | instskip(SKIP_1) | instid1(VALU_DEP_1)
	s_cmp_lg_u32 s2, 0
	s_add_co_ci_u32 s29, s29, s35
	v_readfirstlane_b32 s28, v3
	s_wait_alu 0xfffe
	s_delay_alu instid0(VALU_DEP_1)
	s_mul_u64 s[30:31], s[30:31], s[28:29]
	s_wait_alu 0xfffe
	s_mul_hi_u32 s35, s28, s31
	s_mul_i32 s34, s28, s31
	s_mul_hi_u32 s2, s28, s30
	s_mul_i32 s33, s29, s30
	s_wait_alu 0xfffe
	s_add_nc_u64 s[34:35], s[2:3], s[34:35]
	s_mul_hi_u32 s27, s29, s30
	s_mul_hi_u32 s28, s29, s31
	s_wait_alu 0xfffe
	s_add_co_u32 s2, s34, s33
	s_add_co_ci_u32 s2, s35, s27
	s_mul_i32 s30, s29, s31
	s_add_co_ci_u32 s31, s28, 0
	s_wait_alu 0xfffe
	s_add_nc_u64 s[30:31], s[2:3], s[30:31]
	s_wait_alu 0xfffe
	v_add_co_u32 v3, s2, v3, s30
	s_delay_alu instid0(VALU_DEP_1) | instskip(SKIP_1) | instid1(VALU_DEP_1)
	s_cmp_lg_u32 s2, 0
	s_add_co_ci_u32 s2, s29, s31
	v_mul_hi_u32 v9, v10, v3
	s_wait_alu 0xfffe
	v_mad_co_u64_u32 v[6:7], null, v10, s2, 0
	v_mad_co_u64_u32 v[12:13], null, v11, v3, 0
	;; [unrolled: 1-line block ×3, first 2 shown]
	s_delay_alu instid0(VALU_DEP_3) | instskip(SKIP_1) | instid1(VALU_DEP_4)
	v_add_co_u32 v3, vcc_lo, v9, v6
	s_wait_alu 0xfffd
	v_add_co_ci_u32_e32 v6, vcc_lo, 0, v7, vcc_lo
	s_delay_alu instid0(VALU_DEP_2) | instskip(SKIP_1) | instid1(VALU_DEP_2)
	v_add_co_u32 v3, vcc_lo, v3, v12
	s_wait_alu 0xfffd
	v_add_co_ci_u32_e32 v3, vcc_lo, v6, v13, vcc_lo
	s_wait_alu 0xfffd
	v_add_co_ci_u32_e32 v6, vcc_lo, 0, v15, vcc_lo
	s_delay_alu instid0(VALU_DEP_2) | instskip(SKIP_1) | instid1(VALU_DEP_2)
	v_add_co_u32 v3, vcc_lo, v3, v14
	s_wait_alu 0xfffd
	v_add_co_ci_u32_e32 v9, vcc_lo, 0, v6, vcc_lo
	s_delay_alu instid0(VALU_DEP_2) | instskip(SKIP_1) | instid1(VALU_DEP_3)
	v_mul_lo_u32 v12, s25, v3
	v_mad_co_u64_u32 v[6:7], null, s24, v3, 0
	v_mul_lo_u32 v13, s24, v9
	s_delay_alu instid0(VALU_DEP_2) | instskip(NEXT) | instid1(VALU_DEP_2)
	v_sub_co_u32 v6, vcc_lo, v10, v6
	v_add3_u32 v7, v7, v13, v12
	s_delay_alu instid0(VALU_DEP_1) | instskip(SKIP_1) | instid1(VALU_DEP_1)
	v_sub_nc_u32_e32 v12, v11, v7
	s_wait_alu 0xfffd
	v_subrev_co_ci_u32_e64 v12, s2, s25, v12, vcc_lo
	v_add_co_u32 v13, s2, v3, 2
	s_wait_alu 0xf1ff
	v_add_co_ci_u32_e64 v14, s2, 0, v9, s2
	v_sub_co_u32 v15, s2, v6, s24
	v_sub_co_ci_u32_e32 v7, vcc_lo, v11, v7, vcc_lo
	s_wait_alu 0xf1ff
	v_subrev_co_ci_u32_e64 v12, s2, 0, v12, s2
	s_delay_alu instid0(VALU_DEP_3) | instskip(NEXT) | instid1(VALU_DEP_3)
	v_cmp_le_u32_e32 vcc_lo, s24, v15
	v_cmp_eq_u32_e64 s2, s25, v7
	s_wait_alu 0xfffd
	v_cndmask_b32_e64 v15, 0, -1, vcc_lo
	v_cmp_le_u32_e32 vcc_lo, s25, v12
	s_wait_alu 0xfffd
	v_cndmask_b32_e64 v16, 0, -1, vcc_lo
	v_cmp_le_u32_e32 vcc_lo, s24, v6
	;; [unrolled: 3-line block ×3, first 2 shown]
	s_wait_alu 0xfffd
	v_cndmask_b32_e64 v17, 0, -1, vcc_lo
	v_cmp_eq_u32_e32 vcc_lo, s25, v12
	s_wait_alu 0xf1ff
	s_delay_alu instid0(VALU_DEP_2)
	v_cndmask_b32_e64 v6, v17, v6, s2
	s_wait_alu 0xfffd
	v_cndmask_b32_e32 v12, v16, v15, vcc_lo
	v_add_co_u32 v15, vcc_lo, v3, 1
	s_wait_alu 0xfffd
	v_add_co_ci_u32_e32 v16, vcc_lo, 0, v9, vcc_lo
	s_delay_alu instid0(VALU_DEP_3) | instskip(SKIP_1) | instid1(VALU_DEP_2)
	v_cmp_ne_u32_e32 vcc_lo, 0, v12
	s_wait_alu 0xfffd
	v_dual_cndmask_b32 v7, v16, v14 :: v_dual_cndmask_b32 v12, v15, v13
	v_cmp_ne_u32_e32 vcc_lo, 0, v6
	s_wait_alu 0xfffd
	s_delay_alu instid0(VALU_DEP_2)
	v_dual_cndmask_b32 v7, v9, v7 :: v_dual_cndmask_b32 v6, v3, v12
.LBB0_4:                                ;   in Loop: Header=BB0_2 Depth=1
	s_wait_alu 0xfffe
	s_and_not1_saveexec_b32 s2, s26
	s_cbranch_execz .LBB0_6
; %bb.5:                                ;   in Loop: Header=BB0_2 Depth=1
	v_cvt_f32_u32_e32 v3, s24
	s_sub_co_i32 s26, 0, s24
	s_delay_alu instid0(VALU_DEP_1) | instskip(NEXT) | instid1(TRANS32_DEP_1)
	v_rcp_iflag_f32_e32 v3, v3
	v_mul_f32_e32 v3, 0x4f7ffffe, v3
	s_delay_alu instid0(VALU_DEP_1) | instskip(SKIP_1) | instid1(VALU_DEP_1)
	v_cvt_u32_f32_e32 v3, v3
	s_wait_alu 0xfffe
	v_mul_lo_u32 v6, s26, v3
	s_delay_alu instid0(VALU_DEP_1) | instskip(NEXT) | instid1(VALU_DEP_1)
	v_mul_hi_u32 v6, v3, v6
	v_add_nc_u32_e32 v3, v3, v6
	s_delay_alu instid0(VALU_DEP_1) | instskip(NEXT) | instid1(VALU_DEP_1)
	v_mul_hi_u32 v3, v10, v3
	v_mul_lo_u32 v6, v3, s24
	v_add_nc_u32_e32 v7, 1, v3
	s_delay_alu instid0(VALU_DEP_2) | instskip(NEXT) | instid1(VALU_DEP_1)
	v_sub_nc_u32_e32 v6, v10, v6
	v_subrev_nc_u32_e32 v9, s24, v6
	v_cmp_le_u32_e32 vcc_lo, s24, v6
	s_wait_alu 0xfffd
	s_delay_alu instid0(VALU_DEP_2) | instskip(NEXT) | instid1(VALU_DEP_1)
	v_dual_cndmask_b32 v6, v6, v9 :: v_dual_cndmask_b32 v3, v3, v7
	v_cmp_le_u32_e32 vcc_lo, s24, v6
	s_delay_alu instid0(VALU_DEP_2) | instskip(SKIP_1) | instid1(VALU_DEP_1)
	v_add_nc_u32_e32 v7, 1, v3
	s_wait_alu 0xfffd
	v_dual_cndmask_b32 v6, v3, v7 :: v_dual_mov_b32 v7, v8
.LBB0_6:                                ;   in Loop: Header=BB0_2 Depth=1
	s_wait_alu 0xfffe
	s_or_b32 exec_lo, exec_lo, s2
	s_delay_alu instid0(VALU_DEP_1) | instskip(NEXT) | instid1(VALU_DEP_2)
	v_mul_lo_u32 v3, v7, s24
	v_mul_lo_u32 v9, v6, s25
	s_load_b64 s[26:27], s[18:19], 0x0
	v_mad_co_u64_u32 v[12:13], null, v6, s24, 0
	s_load_b64 s[24:25], s[16:17], 0x0
	s_add_nc_u64 s[20:21], s[20:21], 1
	s_add_nc_u64 s[16:17], s[16:17], 8
	s_wait_alu 0xfffe
	v_cmp_ge_u64_e64 s2, s[20:21], s[6:7]
	s_add_nc_u64 s[18:19], s[18:19], 8
	s_add_nc_u64 s[22:23], s[22:23], 8
	v_add3_u32 v3, v13, v9, v3
	v_sub_co_u32 v9, vcc_lo, v10, v12
	s_wait_alu 0xfffd
	s_delay_alu instid0(VALU_DEP_2) | instskip(SKIP_2) | instid1(VALU_DEP_1)
	v_sub_co_ci_u32_e32 v3, vcc_lo, v11, v3, vcc_lo
	s_and_b32 vcc_lo, exec_lo, s2
	s_wait_kmcnt 0x0
	v_mul_lo_u32 v10, s26, v3
	v_mul_lo_u32 v11, s27, v9
	v_mad_co_u64_u32 v[1:2], null, s26, v9, v[1:2]
	v_mul_lo_u32 v3, s24, v3
	v_mul_lo_u32 v12, s25, v9
	v_mad_co_u64_u32 v[4:5], null, s24, v9, v[4:5]
	s_delay_alu instid0(VALU_DEP_4) | instskip(NEXT) | instid1(VALU_DEP_2)
	v_add3_u32 v2, v11, v2, v10
	v_add3_u32 v5, v12, v5, v3
	s_wait_alu 0xfffe
	s_cbranch_vccnz .LBB0_9
; %bb.7:                                ;   in Loop: Header=BB0_2 Depth=1
	v_dual_mov_b32 v11, v7 :: v_dual_mov_b32 v10, v6
	s_branch .LBB0_2
.LBB0_8:
	v_dual_mov_b32 v5, v2 :: v_dual_mov_b32 v4, v1
	v_dual_mov_b32 v6, v10 :: v_dual_mov_b32 v7, v11
.LBB0_9:
	s_load_b64 s[0:1], s[0:1], 0x28
	v_mul_hi_u32 v12, 0x2d82d83, v0
	s_lshl_b64 s[6:7], s[6:7], 3
                                        ; implicit-def: $vgpr8
	s_wait_alu 0xfffe
	s_add_nc_u64 s[2:3], s[14:15], s[6:7]
	s_wait_kmcnt 0x0
	v_cmp_gt_u64_e32 vcc_lo, s[0:1], v[6:7]
	v_cmp_le_u64_e64 s0, s[0:1], v[6:7]
	s_delay_alu instid0(VALU_DEP_1)
	s_and_saveexec_b32 s1, s0
	s_wait_alu 0xfffe
	s_xor_b32 s0, exec_lo, s1
; %bb.10:
	v_mul_u32_u24_e32 v1, 0x5a, v12
                                        ; implicit-def: $vgpr12
	s_delay_alu instid0(VALU_DEP_1)
	v_sub_nc_u32_e32 v8, v0, v1
                                        ; implicit-def: $vgpr0
                                        ; implicit-def: $vgpr1_vgpr2
; %bb.11:
	s_wait_alu 0xfffe
	s_or_saveexec_b32 s1, s0
	s_load_b64 s[2:3], s[2:3], 0x0
                                        ; implicit-def: $vgpr32
                                        ; implicit-def: $vgpr9
                                        ; implicit-def: $vgpr22
                                        ; implicit-def: $vgpr26
                                        ; implicit-def: $vgpr19
                                        ; implicit-def: $vgpr27
                                        ; implicit-def: $vgpr23
                                        ; implicit-def: $vgpr11
                                        ; implicit-def: $vgpr21
                                        ; implicit-def: $vgpr28
                                        ; implicit-def: $vgpr20
                                        ; implicit-def: $vgpr16
                                        ; implicit-def: $vgpr18
                                        ; implicit-def: $vgpr29
                                        ; implicit-def: $vgpr3
                                        ; implicit-def: $vgpr31
                                        ; implicit-def: $vgpr10
                                        ; implicit-def: $vgpr24
                                        ; implicit-def: $vgpr14
                                        ; implicit-def: $vgpr30
                                        ; implicit-def: $vgpr15
                                        ; implicit-def: $vgpr17
                                        ; implicit-def: $vgpr35
                                        ; implicit-def: $vgpr33
                                        ; implicit-def: $vgpr38
                                        ; implicit-def: $vgpr39
                                        ; implicit-def: $vgpr37
                                        ; implicit-def: $vgpr40
                                        ; implicit-def: $vgpr36
                                        ; implicit-def: $vgpr34
                                        ; implicit-def: $vgpr25
	s_xor_b32 exec_lo, exec_lo, s1
	s_cbranch_execz .LBB0_15
; %bb.12:
	s_add_nc_u64 s[6:7], s[12:13], s[6:7]
	v_lshlrev_b64_e32 v[1:2], 2, v[1:2]
	s_load_b64 s[6:7], s[6:7], 0x0
                                        ; implicit-def: $vgpr17
                                        ; implicit-def: $vgpr15
                                        ; implicit-def: $vgpr30
                                        ; implicit-def: $vgpr14
                                        ; implicit-def: $vgpr24
                                        ; implicit-def: $vgpr31
                                        ; implicit-def: $vgpr29
                                        ; implicit-def: $vgpr18
                                        ; implicit-def: $vgpr16
                                        ; implicit-def: $vgpr20
                                        ; implicit-def: $vgpr28
                                        ; implicit-def: $vgpr21
                                        ; implicit-def: $vgpr11
                                        ; implicit-def: $vgpr23
                                        ; implicit-def: $vgpr27
                                        ; implicit-def: $vgpr19
                                        ; implicit-def: $vgpr26
                                        ; implicit-def: $vgpr22
	s_wait_kmcnt 0x0
	v_mul_lo_u32 v3, s7, v6
	v_mul_lo_u32 v10, s6, v7
	v_mad_co_u64_u32 v[8:9], null, s6, v6, 0
	s_delay_alu instid0(VALU_DEP_1) | instskip(SKIP_1) | instid1(VALU_DEP_2)
	v_add3_u32 v9, v9, v10, v3
	v_mul_u32_u24_e32 v3, 0x5a, v12
	v_lshlrev_b64_e32 v[9:10], 2, v[8:9]
	s_delay_alu instid0(VALU_DEP_2) | instskip(NEXT) | instid1(VALU_DEP_2)
	v_sub_nc_u32_e32 v8, v0, v3
	v_add_co_u32 v0, s0, s8, v9
	s_wait_alu 0xf1ff
	s_delay_alu instid0(VALU_DEP_3) | instskip(NEXT) | instid1(VALU_DEP_3)
	v_add_co_ci_u32_e64 v3, s0, s9, v10, s0
	v_lshlrev_b32_e32 v9, 2, v8
	s_delay_alu instid0(VALU_DEP_3) | instskip(SKIP_1) | instid1(VALU_DEP_3)
	v_add_co_u32 v0, s0, v0, v1
	s_wait_alu 0xf1ff
	v_add_co_ci_u32_e64 v1, s0, v3, v2, s0
                                        ; implicit-def: $vgpr10
                                        ; implicit-def: $vgpr3
	s_delay_alu instid0(VALU_DEP_2) | instskip(SKIP_1) | instid1(VALU_DEP_2)
	v_add_co_u32 v0, s0, v0, v9
	s_wait_alu 0xf1ff
	v_add_co_ci_u32_e64 v1, s0, 0, v1, s0
	v_cmp_gt_u32_e64 s0, 54, v8
	s_clause 0x9
	global_load_b32 v9, v[0:1], off
	global_load_b32 v25, v[0:1], off offset:576
	global_load_b32 v12, v[0:1], off offset:1152
	;; [unrolled: 1-line block ×9, first 2 shown]
	s_and_saveexec_b32 s6, s0
	s_cbranch_execz .LBB0_14
; %bb.13:
	s_clause 0x9
	global_load_b32 v26, v[0:1], off offset:360
	global_load_b32 v27, v[0:1], off offset:936
	;; [unrolled: 1-line block ×10, first 2 shown]
	s_wait_loadcnt 0x9
	v_lshrrev_b32_e32 v22, 16, v26
	s_wait_loadcnt 0x8
	v_lshrrev_b32_e32 v19, 16, v27
	;; [unrolled: 2-line block ×10, first 2 shown]
.LBB0_14:
	s_wait_alu 0xfffe
	s_or_b32 exec_lo, exec_lo, s6
	s_wait_loadcnt 0x9
	v_lshrrev_b32_e32 v32, 16, v9
	s_wait_loadcnt 0x5
	v_perm_b32 v35, v36, v12, 0x7060302
	s_wait_loadcnt 0x1
	v_perm_b32 v33, v37, v39, 0x7060302
	v_perm_b32 v38, v12, v36, 0x5040100
	v_perm_b32 v39, v39, v37, 0x5040100
	v_bfi_b32 v37, 0xffff, v2, v13
	v_bfi_b32 v40, 0xffff, v13, v2
	s_wait_loadcnt 0x0
	v_bfi_b32 v36, 0xffff, v41, v34
	v_bfi_b32 v34, 0xffff, v34, v41
.LBB0_15:
	s_or_b32 exec_lo, exec_lo, s1
	v_lshrrev_b32_e32 v0, 16, v38
	v_lshrrev_b32_e32 v1, 16, v39
	v_pk_add_f16 v2, v25, v37
	v_pk_add_f16 v12, v40, v34 neg_lo:[0,1] neg_hi:[0,1]
	v_pk_add_f16 v13, v40, v34
	v_add_f16_e32 v0, v0, v9
	v_pk_add_f16 v41, v37, v36 neg_lo:[0,1] neg_hi:[0,1]
	v_pk_add_f16 v44, v37, v36
	v_pk_add_f16 v42, v37, v40 neg_lo:[0,1] neg_hi:[0,1]
	v_pk_add_f16 v43, v36, v34 neg_lo:[0,1] neg_hi:[0,1]
	v_add_f16_e32 v0, v0, v38
	v_pk_add_f16 v45, v40, v37 neg_lo:[0,1] neg_hi:[0,1]
	v_pk_add_f16 v2, v2, v40
	v_pk_fma_f16 v13, v13, 0.5, v25 op_sel_hi:[1,0,1] neg_lo:[1,0,0] neg_hi:[1,0,0]
	v_pk_mul_f16 v46, 0x3b9c, v12 op_sel_hi:[0,1]
	v_add_f16_e32 v0, v0, v39
	v_pk_mul_f16 v47, 0x38b4, v41 op_sel_hi:[0,1]
	v_pk_fma_f16 v44, v44, 0.5, v25 op_sel_hi:[1,0,1] neg_lo:[1,0,0] neg_hi:[1,0,0]
	v_pk_add_f16 v2, v2, v34
	v_pk_add_f16 v48, v13, v46 op_sel:[0,1] op_sel_hi:[1,0]
	v_add_f16_e32 v63, v0, v1
	v_pk_add_f16 v0, v34, v36 neg_lo:[0,1] neg_hi:[0,1]
	v_pk_fma_f16 v1, 0x3b9c, v41, v44 op_sel:[0,0,1] op_sel_hi:[0,1,0] neg_lo:[0,1,0] neg_hi:[0,1,0]
	v_pk_mul_f16 v49, 0x38b4, v12 op_sel_hi:[0,1]
	v_pk_add_f16 v50, v42, v43
	v_lshrrev_b32_e32 v42, 16, v47
	v_pk_add_f16 v0, v45, v0
	v_lshrrev_b32_e32 v43, 16, v1
	v_lshrrev_b32_e32 v45, 16, v49
	v_pk_add_f16 v64, v2, v36
	v_pk_mul_f16 v2, 0x34f2, v50 op_sel_hi:[0,1]
	v_add_f16_e32 v42, v42, v48
	v_pk_mul_f16 v0, 0x34f2, v0 op_sel_hi:[0,1]
	v_pk_fma_f16 v41, 0x3b9c, v41, v44 op_sel:[0,0,1] op_sel_hi:[0,1,0]
	v_lshrrev_b32_e32 v44, 16, v48
	v_pk_add_f16 v13, v13, v46 op_sel:[0,1] op_sel_hi:[1,0] neg_lo:[0,1] neg_hi:[0,1]
	v_add_f16_e32 v43, v45, v43
	v_add_f16_e32 v42, v2, v42
	v_pk_fma_f16 v45, 0x38b4, v12, v41 op_sel_hi:[0,1,1]
	v_sub_f16_e32 v1, v1, v49
	v_sub_f16_e32 v44, v44, v47
	v_lshrrev_b32_e32 v2, 16, v2
	v_lshrrev_b32_e32 v46, 16, v0
	v_pk_fma_f16 v12, 0x38b4, v12, v41 op_sel_hi:[0,1,1] neg_lo:[0,1,0] neg_hi:[0,1,0]
	v_pk_add_f16 v41, v13, v47 op_sel:[0,1] op_sel_hi:[1,0] neg_lo:[0,1] neg_hi:[0,1]
	v_pk_add_f16 v13, v13, v47 op_sel:[0,1] op_sel_hi:[1,0]
	v_add_f16_e32 v47, v2, v44
	v_add_f16_e32 v46, v46, v1
	;; [unrolled: 1-line block ×3, first 2 shown]
	v_bfi_b32 v2, 0xffff, v45, v12
	v_bfi_b32 v12, 0xffff, v41, v13
	v_add_f16_e32 v43, v0, v43
	v_sub_f16_e32 v13, v21, v3
	v_fma_f16 v55, -0.5, v1, v26
	v_pk_add_f16 v49, v0, v2 op_sel:[1,0] op_sel_hi:[0,1]
	v_pk_fma_f16 v48, 0x34f2, v50, v12 op_sel_hi:[0,1,1]
	v_add_f16_e32 v0, v11, v24
	v_add_f16_e32 v1, v29, v30
	v_sub_f16_e32 v2, v11, v16
	v_sub_f16_e32 v12, v24, v17
	v_add_f16_e32 v50, v28, v31
	v_fma_f16 v57, -0.5, v0, v26
	v_fma_f16 v0, -0.5, v1, v27
	v_sub_f16_e32 v1, v16, v11
	v_add_f16_e32 v60, v2, v12
	v_sub_f16_e32 v2, v17, v24
	v_sub_f16_e32 v12, v18, v14
	v_sub_f16_e32 v41, v28, v29
	v_sub_f16_e32 v44, v31, v30
	v_fmamk_f16 v45, v13, 0xbb9c, v0
	v_add_f16_e32 v59, v1, v2
	v_fma_f16 v1, -0.5, v50, v27
	v_fmac_f16_e32 v0, 0x3b9c, v13
	v_add_f16_e32 v2, v41, v44
	v_sub_f16_e32 v41, v29, v28
	v_sub_f16_e32 v50, v30, v31
	v_fmamk_f16 v44, v12, 0x3b9c, v1
	v_fmac_f16_e32 v1, 0xbb9c, v12
	v_fmac_f16_e32 v45, 0xb8b4, v12
	v_fmac_f16_e32 v0, 0x38b4, v12
	v_add_f16_e32 v12, v41, v50
	v_fmac_f16_e32 v44, 0xb8b4, v13
	v_fmac_f16_e32 v1, 0x38b4, v13
	v_add_f16_e32 v13, v21, v3
	v_fmac_f16_e32 v45, 0x34f2, v2
	v_fmac_f16_e32 v0, 0x34f2, v2
	v_add_f16_e32 v2, v18, v14
	v_fmac_f16_e32 v44, 0x34f2, v12
	v_sub_f16_e32 v61, v29, v30
	v_fma_f16 v41, -0.5, v13, v19
	v_fmac_f16_e32 v1, 0x34f2, v12
	v_sub_f16_e32 v12, v21, v18
	v_sub_f16_e32 v13, v3, v14
	;; [unrolled: 1-line block ×4, first 2 shown]
	v_fma_f16 v2, -0.5, v2, v19
	v_sub_f16_e32 v52, v28, v31
	v_fmamk_f16 v51, v61, 0xbb9c, v41
	v_add_f16_e32 v12, v12, v13
	v_add_f16_e32 v13, v62, v68
	v_fmac_f16_e32 v41, 0x3b9c, v61
	v_pk_add_f16 v62, v38, v39
	v_fmamk_f16 v50, v52, 0x3b9c, v2
	v_fmac_f16_e32 v2, 0xbb9c, v52
	v_fmac_f16_e32 v51, 0x38b4, v52
	;; [unrolled: 1-line block ×3, first 2 shown]
	v_pk_add_f16 v52, v35, v33 neg_lo:[0,1] neg_hi:[0,1]
	v_pk_fma_f16 v9, v62, 0.5, v9 op_sel_hi:[1,0,0] neg_lo:[1,0,0] neg_hi:[1,0,0]
	v_pk_add_f16 v68, v38, v38 op_sel:[1,0] op_sel_hi:[0,1] neg_lo:[0,1] neg_hi:[0,1]
	v_fmac_f16_e32 v51, 0x34f2, v13
	v_fmac_f16_e32 v41, 0x34f2, v13
	v_pk_add_f16 v69, v39, v39 op_sel:[1,0] op_sel_hi:[0,1] neg_lo:[0,1] neg_hi:[0,1]
	v_pk_fma_f16 v13, 0x3b9c, v52, v9 op_sel_hi:[0,1,1]
	v_pk_fma_f16 v9, 0x3b9c, v52, v9 op_sel_hi:[0,1,1] neg_lo:[0,1,0] neg_hi:[0,1,0]
	v_pk_mul_f16 v52, 0x38b4, v52 op_sel_hi:[0,1]
	v_sub_f16_e32 v56, v23, v10
	v_sub_f16_e32 v58, v20, v15
	v_fmac_f16_e32 v50, 0x38b4, v61
	v_bfi_b32 v70, 0xffff, v9, v13
	v_pk_add_f16 v68, v68, v69
	v_bfi_b32 v69, 0xffff, v49, v48
	v_pk_add_f16 v9, v52, v9 op_sel:[1,0] op_sel_hi:[0,1]
	v_mul_f16_e32 v66, 0xbb9c, v47
	v_fmamk_f16 v53, v56, 0xbb9c, v55
	v_fmamk_f16 v54, v58, 0x3b9c, v57
	v_fmac_f16_e32 v50, 0x34f2, v12
	v_lshrrev_b32_e32 v71, 16, v52
	v_pk_add_f16 v52, v70, v52 op_sel:[0,1] op_sel_hi:[1,0] neg_lo:[0,1] neg_hi:[0,1]
	v_bfi_b32 v70, 0xffff, v48, v49
	v_pk_mul_f16 v69, 0xbb9cb8b4, v69
	v_pk_fma_f16 v9, 0x34f2, v68, v9 op_sel_hi:[0,1,1]
	v_fmac_f16_e32 v66, 0xb4f2, v43
	v_fmac_f16_e32 v53, 0xb8b4, v58
	;; [unrolled: 1-line block ×4, first 2 shown]
	v_mul_f16_e32 v61, 0xb8b4, v50
	v_mul_f16_e32 v62, 0xbb9c, v51
	v_add_f16_e32 v71, v71, v13
	v_pk_fma_f16 v73, 0x34f2, v68, v52 op_sel_hi:[0,1,1]
	v_pk_fma_f16 v69, 0x34f23a79, v70, v69
	v_lshrrev_b32_e32 v70, 16, v9
	v_mul_f16_e32 v67, 0xb8b4, v46
	v_add_f16_e32 v65, v63, v64
	v_fmac_f16_e32 v53, 0x34f2, v60
	v_fmac_f16_e32 v54, 0x34f2, v59
	;; [unrolled: 1-line block ×4, first 2 shown]
	v_mul_u32_u24_e32 v72, 10, v8
	v_fmac_f16_e32 v71, 0x34f2, v68
	v_pk_add_f16 v68, v73, v69
	v_add_f16_e32 v70, v70, v66
	v_pack_b32_f16 v63, v63, v73
	v_pack_b32_f16 v64, v64, v69
	v_perm_b32 v9, v9, v73, 0x7060302
	v_alignbit_b32 v66, v66, v69, 16
	v_fmac_f16_e32 v67, 0xba79, v42
	v_fmac_f16_e32 v2, 0x34f2, v12
	v_sub_f16_e32 v12, v53, v61
	v_sub_f16_e32 v13, v54, v62
	v_lshl_add_u32 v52, v72, 1, 0
	v_alignbit_b32 v69, v70, v68, 16
	v_pack_b32_f16 v65, v65, v68
	v_pk_add_f16 v63, v63, v64 neg_lo:[0,1] neg_hi:[0,1]
	v_pk_add_f16 v64, v9, v66 neg_lo:[0,1] neg_hi:[0,1]
	v_add_nc_u32_e32 v9, 0x5a, v8
	v_cmp_gt_u32_e64 s0, 54, v8
	v_add_f16_e32 v72, v71, v67
	v_sub_f16_e32 v67, v71, v67
	ds_store_2addr_b32 v52, v65, v69 offset1:1
	ds_store_b16 v52, v72 offset:8
	ds_store_b64 v52, v[63:64] offset:10
	ds_store_b16 v52, v67 offset:18
	s_and_saveexec_b32 s1, s0
	s_cbranch_execz .LBB0_17
; %bb.16:
	v_mul_f16_e32 v64, 0x38b4, v58
	v_mul_f16_e32 v58, 0x3b9c, v58
	v_add_f16_e32 v26, v26, v11
	v_add_f16_e32 v27, v27, v28
	v_mul_f16_e32 v63, 0x3b9c, v56
	v_mul_f16_e32 v56, 0x38b4, v56
	v_sub_f16_e32 v57, v57, v58
	v_add_f16_e32 v26, v26, v16
	v_add_f16_e32 v27, v27, v29
	;; [unrolled: 1-line block ×3, first 2 shown]
	v_mul_f16_e32 v28, 0x34f2, v59
	v_add_f16_e32 v56, v56, v57
	v_add_f16_e32 v26, v26, v17
	;; [unrolled: 1-line block ×3, first 2 shown]
	v_mul_f16_e32 v30, 0xbb9c, v41
	v_mul_f16_e32 v60, 0x34f2, v60
	v_add_f16_e32 v55, v64, v55
	v_mul_f16_e32 v29, 0xb8b4, v2
	v_add_f16_e32 v28, v28, v56
	v_add_f16_e32 v26, v24, v26
	;; [unrolled: 1-line block ×3, first 2 shown]
	v_fmac_f16_e32 v30, 0xb4f2, v1
	v_add_f16_e32 v55, v60, v55
	v_fmac_f16_e32 v29, 0xba79, v0
	s_delay_alu instid0(VALU_DEP_4) | instskip(NEXT) | instid1(VALU_DEP_4)
	v_sub_f16_e32 v56, v26, v27
	v_add_f16_e32 v57, v28, v30
	v_perm_b32 v27, v53, v27, 0x5040100
	v_perm_b32 v26, v61, v26, 0x5040100
	v_add_f16_e32 v53, v54, v62
	v_sub_f16_e32 v31, v55, v29
	v_add_f16_e32 v29, v55, v29
	v_sub_f16_e32 v28, v28, v30
	v_mad_u32_u24 v30, v9, 20, 0
	v_pk_add_f16 v26, v27, v26
	v_pack_b32_f16 v27, v53, v57
	v_pack_b32_f16 v29, v29, v56
	v_perm_b32 v53, v13, v12, 0x5040100
	v_pack_b32_f16 v28, v28, v31
	ds_store_2addr_b32 v30, v26, v27 offset1:1
	ds_store_2addr_b32 v30, v29, v53 offset0:2 offset1:3
	ds_store_b32 v30, v28 offset:16
.LBB0_17:
	s_wait_alu 0xfffe
	s_or_b32 exec_lo, exec_lo, s1
	v_pk_add_f16 v26, v35, v33
	v_pk_add_f16 v25, v25, v40
	v_pk_add_f16 v29, v38, v39 neg_lo:[0,1] neg_hi:[0,1]
	v_add_f16_e32 v27, v35, v32
	v_lshrrev_b32_e32 v28, 16, v35
	v_pk_fma_f16 v26, v26, -0.5, v32 op_sel_hi:[1,0,0]
	v_pk_add_f16 v31, v35, v35 op_sel:[0,1] op_sel_hi:[1,0] neg_lo:[0,1] neg_hi:[0,1]
	v_pk_add_f16 v32, v33, v33 op_sel:[0,1] op_sel_hi:[1,0] neg_lo:[0,1] neg_hi:[0,1]
	v_pk_add_f16 v25, v25, v37
	v_add_f16_e32 v27, v27, v28
	v_pk_fma_f16 v35, 0x3b9c, v29, v26 op_sel_hi:[0,1,1] neg_lo:[0,1,0] neg_hi:[0,1,0]
	v_pk_mul_f16 v28, 0x38b4, v29 op_sel_hi:[0,1]
	v_pk_add_f16 v31, v31, v32
	v_pk_add_f16 v25, v25, v36
	v_pk_fma_f16 v26, 0x3b9c, v29, v26 op_sel_hi:[0,1,1]
	v_lshrrev_b32_e32 v32, 16, v35
	v_lshrrev_b32_e32 v30, 16, v33
	global_wb scope:SCOPE_SE
	s_wait_dscnt 0x0
	v_pk_add_f16 v25, v25, v34
	v_alignbit_b32 v34, v35, v26, 16
	v_sub_f16_e32 v32, v32, v28
	v_alignbit_b32 v28, s0, v28, 16
	v_add_f16_e32 v27, v27, v30
	v_pk_mul_f16 v30, 0x34f2, v31 op_sel_hi:[0,1]
	v_pk_fma_f16 v29, 0x38b4, v29, v34 op_sel_hi:[0,1,1]
	v_mul_f16_e32 v34, 0x3a79, v46
	v_pk_add_f16 v26, v26, v28 neg_lo:[0,1] neg_hi:[0,1]
	v_pk_mul_f16 v28, 0x3b9c3a79, v49
	v_add_f16_e32 v27, v27, v33
	v_lshrrev_b32_e32 v33, 16, v25
	v_add_f16_e32 v55, v30, v32
	v_alignbit_b32 v30, s0, v30, 16
	v_mul_f16_e32 v32, 0x34f2, v47
	v_pk_fma_f16 v29, 0x34f2, v31, v29 op_sel_hi:[0,1,1]
	v_pk_fma_f16 v28, 0x34f238b4, v48, v28
	v_sub_f16_e32 v48, v11, v24
	v_sub_f16_e32 v49, v16, v17
	;; [unrolled: 1-line block ×4, first 2 shown]
	v_pk_add_f16 v26, v30, v26
	v_fma_f16 v30, v43, 0x3b9c, -v32
	v_add_f16_e32 v57, v27, v33
	v_add_f16_e32 v31, v20, v15
	v_pack_b32_f16 v61, v27, v29
	v_add_f16_e32 v27, v23, v10
	v_alignbit_b32 v62, v28, v25, 16
	v_sub_f16_e32 v24, v20, v23
	v_sub_f16_e32 v25, v15, v10
	v_add_f16_e32 v54, v11, v17
	v_mad_i32_i24 v11, 0xffffffee, v8, v52
	v_fma_f16 v56, v42, 0x38b4, -v34
	v_pk_add_f16 v58, v29, v28
	v_add_f16_e32 v59, v26, v30
	v_fma_f16 v46, -0.5, v31, v22
	v_fma_f16 v47, -0.5, v27, v22
	v_alignbit_b32 v16, v26, v29, 16
	v_alignbit_b32 v63, v30, v28, 16
	v_add_f16_e32 v53, v24, v25
	s_wait_kmcnt 0x0
	s_barrier_signal -1
	s_barrier_wait -1
	global_inv scope:SCOPE_SE
	ds_load_u16 v25, v11
	ds_load_u16 v39, v11 offset:180
	ds_load_u16 v38, v11 offset:360
	;; [unrolled: 1-line block ×15, first 2 shown]
	v_fmamk_f16 v40, v48, 0x3b9c, v46
	v_fmamk_f16 v42, v49, 0xbb9c, v47
	v_mul_f16_e32 v43, 0x38b4, v45
	v_mul_f16_e32 v45, 0x34f2, v51
	v_add_f16_e32 v60, v55, v56
	v_fmac_f16_e32 v40, 0x38b4, v49
	v_fmac_f16_e32 v42, 0x38b4, v48
	;; [unrolled: 1-line block ×4, first 2 shown]
	v_pk_add_f16 v51, v16, v63 neg_lo:[0,1] neg_hi:[0,1]
	v_fmac_f16_e32 v40, 0x34f2, v54
	v_fmac_f16_e32 v42, 0x34f2, v53
	v_sub_f16_e32 v44, v55, v56
	v_alignbit_b32 v55, v59, v58, 16
	v_pack_b32_f16 v56, v57, v58
	v_sub_f16_e32 v17, v40, v43
	v_sub_f16_e32 v16, v42, v45
	v_pk_add_f16 v50, v61, v62 neg_lo:[0,1] neg_hi:[0,1]
	global_wb scope:SCOPE_SE
	s_wait_dscnt 0x0
	s_barrier_signal -1
	s_barrier_wait -1
	global_inv scope:SCOPE_SE
	ds_store_2addr_b32 v52, v56, v55 offset1:1
	ds_store_b16 v52, v60 offset:8
	ds_store_b64 v52, v[50:51] offset:10
	ds_store_b16 v52, v44 offset:18
	s_and_saveexec_b32 s1, s0
	s_cbranch_execz .LBB0_19
; %bb.18:
	v_add_f16_e32 v22, v22, v23
	v_mul_f16_e32 v23, 0x3b9c, v48
	v_add_f16_e32 v19, v19, v21
	v_mul_f16_e32 v44, 0x38b4, v49
	v_mul_f16_e32 v48, 0x38b4, v48
	v_add_f16_e32 v20, v22, v20
	v_mul_f16_e32 v22, 0x3b9c, v49
	v_add_f16_e32 v18, v19, v18
	v_sub_f16_e32 v19, v46, v23
	v_mul_f16_e32 v21, 0x34f2, v54
	v_add_f16_e32 v15, v20, v15
	v_add_f16_e32 v20, v47, v22
	v_mul_f16_e32 v22, 0x34f2, v53
	v_add_f16_e32 v14, v18, v14
	v_sub_f16_e32 v18, v19, v44
	v_add_f16_e32 v10, v10, v15
	v_sub_f16_e32 v15, v20, v48
	v_mul_f16_e32 v19, 0xb4f2, v41
	v_mul_f16_e32 v2, 0xba79, v2
	v_add_f16_e32 v3, v3, v14
	v_add_f16_e32 v14, v21, v18
	;; [unrolled: 1-line block ×3, first 2 shown]
	v_fmac_f16_e32 v19, 0x3b9c, v1
	v_fmac_f16_e32 v2, 0x38b4, v0
	v_add_f16_e32 v1, v3, v10
	v_add_f16_e32 v0, v40, v43
	;; [unrolled: 1-line block ×4, first 2 shown]
	v_mul_u32_u24_e32 v21, 10, v9
	v_add_f16_e32 v22, v14, v2
	v_sub_f16_e32 v3, v10, v3
	v_sub_f16_e32 v10, v15, v19
	;; [unrolled: 1-line block ×3, first 2 shown]
	v_lshl_add_u32 v14, v21, 1, 0
	v_pack_b32_f16 v15, v18, v20
	v_pack_b32_f16 v0, v1, v0
	;; [unrolled: 1-line block ×3, first 2 shown]
	v_perm_b32 v3, v16, v17, 0x5040100
	v_pack_b32_f16 v2, v10, v2
	ds_store_2addr_b32 v14, v0, v15 offset1:1
	ds_store_2addr_b32 v14, v1, v3 offset0:2 offset1:3
	ds_store_b32 v14, v2 offset:16
.LBB0_19:
	s_wait_alu 0xfffe
	s_or_b32 exec_lo, exec_lo, s1
	v_and_b32_e32 v0, 0xff, v8
	global_wb scope:SCOPE_SE
	s_wait_dscnt 0x0
	s_barrier_signal -1
	s_barrier_wait -1
	global_inv scope:SCOPE_SE
	v_mul_lo_u16 v0, 0xcd, v0
	v_cmp_gt_u32_e64 s0, 30, v8
	s_delay_alu instid0(VALU_DEP_2) | instskip(NEXT) | instid1(VALU_DEP_1)
	v_lshrrev_b16 v10, 11, v0
	v_mul_lo_u16 v0, v10, 10
	v_and_b32_e32 v10, 0xffff, v10
	s_delay_alu instid0(VALU_DEP_2) | instskip(NEXT) | instid1(VALU_DEP_2)
	v_sub_nc_u16 v0, v8, v0
	v_mul_u32_u24_e32 v10, 0xa0, v10
	s_delay_alu instid0(VALU_DEP_2) | instskip(NEXT) | instid1(VALU_DEP_1)
	v_and_b32_e32 v15, 0xff, v0
	v_mul_u32_u24_e32 v0, 15, v15
	s_delay_alu instid0(VALU_DEP_3) | instskip(NEXT) | instid1(VALU_DEP_2)
	v_or_b32_e32 v10, v10, v15
	v_lshlrev_b32_e32 v14, 2, v0
	s_delay_alu instid0(VALU_DEP_2)
	v_lshl_add_u32 v15, v10, 1, 0
	s_clause 0x3
	global_load_b128 v[18:21], v14, s[4:5]
	global_load_b128 v[0:3], v14, s[4:5] offset:16
	global_load_b128 v[42:45], v14, s[4:5] offset:32
	global_load_b96 v[46:48], v14, s[4:5] offset:48
	ds_load_u16 v14, v11
	ds_load_u16 v22, v11 offset:180
	ds_load_u16 v23, v11 offset:360
	;; [unrolled: 1-line block ×15, first 2 shown]
	global_wb scope:SCOPE_SE
	s_wait_loadcnt_dscnt 0x0
	s_barrier_signal -1
	s_barrier_wait -1
	global_inv scope:SCOPE_SE
	v_lshrrev_b32_e32 v10, 16, v18
	v_lshrrev_b32_e32 v61, 16, v19
	;; [unrolled: 1-line block ×15, first 2 shown]
	v_mul_f16_e32 v74, v22, v10
	v_mul_f16_e32 v10, v39, v10
	;; [unrolled: 1-line block ×29, first 2 shown]
	v_fmac_f16_e32 v74, v39, v18
	v_fma_f16 v10, v22, v18, -v10
	v_fmac_f16_e32 v75, v38, v19
	v_fma_f16 v18, v23, v19, -v61
	;; [unrolled: 2-line block ×7, first 2 shown]
	v_fmac_f16_e32 v81, v24, v3
	v_fmac_f16_e32 v82, v32, v42
	v_fma_f16 v20, v54, v42, -v67
	v_fmac_f16_e32 v83, v31, v43
	v_fma_f16 v21, v55, v43, -v68
	;; [unrolled: 2-line block ×6, first 2 shown]
	v_fma_f16 v22, v56, v44, -v69
	v_fmac_f16_e32 v85, v29, v45
	v_sub_f16_e32 v29, v25, v81
	v_sub_f16_e32 v38, v36, v23
	;; [unrolled: 1-line block ×15, first 2 shown]
	v_fma_f16 v39, v75, 2.0, -v23
	v_fma_f16 v44, v18, 2.0, -v21
	;; [unrolled: 1-line block ×11, first 2 shown]
	v_add_f16_e32 v49, v29, v38
	v_add_f16_e32 v50, v23, v27
	v_sub_f16_e32 v51, v21, v30
	v_add_f16_e32 v27, v31, v28
	v_add_f16_e32 v26, v33, v26
	v_fma_f16 v25, v25, 2.0, -v29
	v_fma_f16 v37, v77, 2.0, -v35
	;; [unrolled: 1-line block ×3, first 2 shown]
	v_sub_f16_e32 v28, v20, v32
	v_sub_f16_e32 v30, v22, v34
	v_fma_f16 v29, v29, 2.0, -v49
	v_sub_f16_e32 v1, v39, v18
	v_fma_f16 v52, v23, 2.0, -v50
	v_fma_f16 v54, v21, 2.0, -v51
	v_sub_f16_e32 v18, v43, v45
	v_sub_f16_e32 v21, v10, v0
	v_fma_f16 v23, v31, 2.0, -v27
	v_sub_f16_e32 v31, v46, v48
	v_fma_f16 v45, v33, 2.0, -v26
	v_sub_f16_e32 v32, v25, v37
	v_sub_f16_e32 v47, v44, v42
	v_fma_f16 v20, v20, 2.0, -v28
	v_sub_f16_e32 v2, v19, v2
	v_fma_f16 v22, v22, 2.0, -v30
	v_fmamk_f16 v53, v50, 0x39a8, v49
	v_fmamk_f16 v0, v26, 0x39a8, v27
	v_fma_f16 v43, v43, 2.0, -v18
	v_fma_f16 v48, v10, 2.0, -v21
	;; [unrolled: 1-line block ×3, first 2 shown]
	v_fmamk_f16 v55, v52, 0xb9a8, v29
	v_fmamk_f16 v33, v45, 0xb9a8, v23
	v_fmamk_f16 v34, v30, 0x39a8, v28
	v_fma_f16 v25, v25, 2.0, -v32
	v_fma_f16 v39, v39, 2.0, -v1
	v_add_f16_e32 v56, v32, v47
	v_fmac_f16_e32 v53, 0x39a8, v51
	v_fmamk_f16 v37, v22, 0xb9a8, v20
	v_add_f16_e32 v58, v18, v2
	v_sub_f16_e32 v59, v21, v31
	v_fmac_f16_e32 v0, 0x39a8, v30
	v_fmac_f16_e32 v55, 0x39a8, v54
	v_sub_f16_e32 v42, v43, v10
	v_fmac_f16_e32 v33, 0x39a8, v22
	v_fma_f16 v19, v19, 2.0, -v2
	v_fmac_f16_e32 v34, 0xb9a8, v26
	v_sub_f16_e32 v2, v25, v39
	v_fma_f16 v26, v32, 2.0, -v56
	v_fma_f16 v30, v49, 2.0, -v53
	v_fmac_f16_e32 v37, 0xb9a8, v45
	v_fma_f16 v60, v18, 2.0, -v58
	v_fma_f16 v61, v21, 2.0, -v59
	v_fma_f16 v39, v27, 2.0, -v0
	v_fma_f16 v21, v29, 2.0, -v55
	v_fma_f16 v22, v43, 2.0, -v42
	v_fma_f16 v43, v23, 2.0, -v33
	v_sub_f16_e32 v49, v48, v19
	v_fma_f16 v45, v28, 2.0, -v34
	v_fmamk_f16 v18, v58, 0x39a8, v56
	v_fmamk_f16 v10, v0, 0x3b64, v53
	v_fma_f16 v19, v25, 2.0, -v2
	v_fma_f16 v46, v20, 2.0, -v37
	v_fmamk_f16 v20, v60, 0xb9a8, v26
	v_fmamk_f16 v23, v39, 0xb61f, v30
	;; [unrolled: 1-line block ×4, first 2 shown]
	v_add_f16_e32 v25, v2, v49
	v_fmac_f16_e32 v18, 0x39a8, v59
	v_fmac_f16_e32 v10, 0x361f, v34
	v_sub_f16_e32 v22, v19, v22
	v_fmac_f16_e32 v20, 0x39a8, v61
	v_fmac_f16_e32 v23, 0x3b64, v45
	;; [unrolled: 1-line block ×4, first 2 shown]
	v_fma_f16 v2, v2, 2.0, -v25
	v_fma_f16 v29, v56, 2.0, -v18
	v_fma_f16 v31, v53, 2.0, -v10
	v_fma_f16 v19, v19, 2.0, -v22
	v_fma_f16 v26, v26, 2.0, -v20
	v_fma_f16 v30, v30, 2.0, -v23
	v_fma_f16 v32, v55, 2.0, -v27
	v_fma_f16 v21, v21, 2.0, -v28
	ds_store_b16 v15, v22 offset:160
	ds_store_b16 v15, v28 offset:180
	;; [unrolled: 1-line block ×8, first 2 shown]
	ds_store_b16 v15, v19
	ds_store_b16 v15, v21 offset:20
	ds_store_b16 v15, v26 offset:40
	;; [unrolled: 1-line block ×7, first 2 shown]
	global_wb scope:SCOPE_SE
	s_wait_dscnt 0x0
	s_barrier_signal -1
	s_barrier_wait -1
	global_inv scope:SCOPE_SE
	ds_load_u16 v28, v11 offset:1140
	ds_load_u16 v27, v11 offset:1320
	ds_load_u16 v21, v11
	ds_load_u16 v20, v11 offset:180
	ds_load_u16 v19, v11 offset:360
	;; [unrolled: 1-line block ×12, first 2 shown]
	v_mul_f16_e32 v53, 0x39a8, v52
	v_mul_f16_e32 v56, 0x39a8, v54
	;; [unrolled: 1-line block ×8, first 2 shown]
	s_and_saveexec_b32 s1, s0
	s_cbranch_execz .LBB0_21
; %bb.20:
	ds_load_u16 v10, v11 offset:900
	ds_load_u16 v12, v11 offset:1860
	;; [unrolled: 1-line block ×3, first 2 shown]
.LBB0_21:
	s_wait_alu 0xfffe
	s_or_b32 exec_lo, exec_lo, s1
	v_mul_f16_e32 v24, v24, v41
	global_wb scope:SCOPE_SE
	s_wait_dscnt 0x0
	s_barrier_signal -1
	s_barrier_wait -1
	global_inv scope:SCOPE_SE
	v_fma_f16 v3, v40, v3, -v24
	v_fma_f16 v24, v36, 2.0, -v38
	v_fma_f16 v36, v44, 2.0, -v47
	;; [unrolled: 1-line block ×3, first 2 shown]
	s_delay_alu instid0(VALU_DEP_4) | instskip(NEXT) | instid1(VALU_DEP_1)
	v_sub_f16_e32 v3, v14, v3
	v_fma_f16 v14, v14, 2.0, -v3
	v_sub_f16_e32 v35, v3, v35
	s_delay_alu instid0(VALU_DEP_2) | instskip(NEXT) | instid1(VALU_DEP_2)
	v_sub_f16_e32 v24, v14, v24
	v_fma_f16 v3, v3, 2.0, -v35
	v_add_f16_e32 v40, v35, v57
	s_delay_alu instid0(VALU_DEP_3) | instskip(NEXT) | instid1(VALU_DEP_3)
	v_fma_f16 v41, v14, 2.0, -v24
	v_sub_f16_e32 v14, v3, v56
	s_delay_alu instid0(VALU_DEP_3) | instskip(SKIP_1) | instid1(VALU_DEP_4)
	v_sub_f16_e32 v40, v40, v55
	v_sub_f16_e32 v1, v24, v1
	;; [unrolled: 1-line block ×3, first 2 shown]
	s_delay_alu instid0(VALU_DEP_4) | instskip(NEXT) | instid1(VALU_DEP_4)
	v_sub_f16_e32 v44, v14, v53
	v_fmamk_f16 v14, v34, 0x3b64, v40
	s_delay_alu instid0(VALU_DEP_4)
	v_fma_f16 v24, v24, 2.0, -v1
	v_fma_f16 v35, v35, 2.0, -v40
	;; [unrolled: 1-line block ×4, first 2 shown]
	v_fmac_f16_e32 v14, 0xb61f, v0
	v_sub_f16_e32 v41, v24, v52
	v_fmamk_f16 v45, v45, 0xb61f, v35
	v_fmamk_f16 v37, v37, 0x361f, v44
	;; [unrolled: 1-line block ×3, first 2 shown]
	v_add_f16_e32 v47, v1, v54
	v_sub_f16_e32 v38, v34, v38
	v_sub_f16_e32 v41, v41, v50
	v_fmac_f16_e32 v45, 0xbb64, v39
	v_fmac_f16_e32 v0, 0xb61f, v43
	v_sub_f16_e32 v42, v36, v42
	v_fmac_f16_e32 v37, 0xbb64, v33
	v_sub_f16_e32 v47, v47, v51
	v_fma_f16 v34, v34, 2.0, -v38
	v_fma_f16 v3, v3, 2.0, -v0
	;; [unrolled: 1-line block ×8, first 2 shown]
	ds_store_b16 v15, v34
	ds_store_b16 v15, v3 offset:20
	ds_store_b16 v15, v24 offset:40
	;; [unrolled: 1-line block ×15, first 2 shown]
	global_wb scope:SCOPE_SE
	s_wait_dscnt 0x0
	s_barrier_signal -1
	s_barrier_wait -1
	global_inv scope:SCOPE_SE
	ds_load_u16 v43, v11 offset:1140
	ds_load_u16 v42, v11 offset:1320
	ds_load_u16 v37, v11
	ds_load_u16 v36, v11 offset:180
	ds_load_u16 v34, v11 offset:360
	;; [unrolled: 1-line block ×12, first 2 shown]
	s_and_saveexec_b32 s1, s0
	s_cbranch_execz .LBB0_23
; %bb.22:
	ds_load_u16 v14, v11 offset:900
	ds_load_u16 v17, v11 offset:1860
	;; [unrolled: 1-line block ×3, first 2 shown]
.LBB0_23:
	s_wait_alu 0xfffe
	s_or_b32 exec_lo, exec_lo, s1
	v_dual_mov_b32 v47, 0 :: v_dual_lshlrev_b32 v46, 1, v8
	v_add_nc_u32_e32 v0, 0xffffffba, v8
	v_cmp_gt_u32_e64 s1, 0x46, v8
	v_add_nc_u32_e32 v33, 0x10e, v8
	s_delay_alu instid0(VALU_DEP_4)
	v_dual_mov_b32 v49, v47 :: v_dual_add_nc_u32 v52, 40, v46
	v_add_nc_u32_e32 v40, 0x168, v8
	s_wait_alu 0xf1ff
	v_cndmask_b32_e64 v15, v0, v9, s1
	v_lshlrev_b64_e32 v[0:1], 2, v[46:47]
	v_mov_b32_e32 v53, v47
	v_and_b32_e32 v47, 0xffff, v33
	v_add_nc_u32_e32 v46, 0, v46
	v_lshlrev_b32_e32 v48, 1, v15
	v_add_nc_u32_e32 v15, 0x1c2, v8
	v_add_co_u32 v0, s1, s4, v0
	v_lshlrev_b64_e32 v[52:53], 2, v[52:53]
	s_delay_alu instid0(VALU_DEP_4)
	v_lshlrev_b64_e32 v[54:55], 2, v[48:49]
	s_wait_alu 0xf1ff
	v_add_co_ci_u32_e64 v1, s1, s5, v1, s1
	v_and_b32_e32 v49, 0xffff, v40
	v_and_b32_e32 v56, 0xffff, v15
	v_mul_u32_u24_e32 v47, 0xcccd, v47
	v_add_co_u32 v54, s1, s4, v54
	s_wait_alu 0xf1ff
	v_add_co_ci_u32_e64 v55, s1, s5, v55, s1
	v_add_co_u32 v52, s1, s4, v52
	v_mul_u32_u24_e32 v49, 0xcccd, v49
	s_wait_alu 0xf1ff
	v_add_co_ci_u32_e64 v53, s1, s5, v53, s1
	v_mul_u32_u24_e32 v56, 0xcccd, v56
	v_lshrrev_b32_e32 v47, 23, v47
	v_lshrrev_b32_e32 v49, 23, v49
	s_clause 0x2
	global_load_b64 v[57:58], v[0:1], off offset:600
	global_load_b64 v[65:66], v[52:53], off offset:600
	;; [unrolled: 1-line block ×3, first 2 shown]
	v_lshrrev_b32_e32 v52, 23, v56
	v_mul_lo_u16 v53, 0xa0, v47
	v_mul_lo_u16 v49, 0xa0, v49
	v_cmp_lt_u32_e64 s1, 0x45, v8
	s_delay_alu instid0(VALU_DEP_4) | instskip(NEXT) | instid1(VALU_DEP_4)
	v_mul_lo_u16 v52, 0xa0, v52
	v_sub_nc_u16 v53, v33, v53
	s_delay_alu instid0(VALU_DEP_4) | instskip(NEXT) | instid1(VALU_DEP_3)
	v_sub_nc_u16 v49, v40, v49
	v_sub_nc_u16 v52, v15, v52
	s_delay_alu instid0(VALU_DEP_3) | instskip(NEXT) | instid1(VALU_DEP_3)
	v_and_b32_e32 v53, 0xffff, v53
	v_and_b32_e32 v49, 0xffff, v49
	s_delay_alu instid0(VALU_DEP_3) | instskip(NEXT) | instid1(VALU_DEP_3)
	v_and_b32_e32 v52, 0xffff, v52
	v_lshlrev_b32_e32 v54, 3, v53
	s_delay_alu instid0(VALU_DEP_3)
	v_lshlrev_b32_e32 v55, 3, v49
	v_lshlrev_b32_e32 v53, 1, v53
	v_lshl_add_u32 v49, v49, 1, 0
	v_lshlrev_b32_e32 v56, 3, v52
	s_clause 0x2
	global_load_b64 v[67:68], v54, s[4:5] offset:600
	global_load_b64 v[69:70], v55, s[4:5] offset:600
	;; [unrolled: 1-line block ×3, first 2 shown]
	s_wait_alu 0xf1ff
	v_cndmask_b32_e64 v54, 0, 0x3c0, s1
	global_wb scope:SCOPE_SE
	s_wait_loadcnt_dscnt 0x0
	s_barrier_signal -1
	s_barrier_wait -1
	global_inv scope:SCOPE_SE
	v_add3_u32 v48, 0, v54, v48
	v_mul_u32_u24_e32 v54, 0x3c0, v47
	v_lshl_add_u32 v47, v52, 1, 0
	v_lshrrev_b32_e32 v52, 16, v57
	v_lshrrev_b32_e32 v61, 16, v58
	s_delay_alu instid0(VALU_DEP_2) | instskip(SKIP_1) | instid1(VALU_DEP_3)
	v_mul_f16_e32 v55, v50, v52
	v_mul_f16_e32 v62, v31, v52
	;; [unrolled: 1-line block ×3, first 2 shown]
	v_add3_u32 v52, 0, v54, v53
	v_mul_f16_e32 v53, v32, v61
	v_fmac_f16_e32 v55, v31, v57
	v_lshrrev_b32_e32 v31, 16, v59
	v_fmac_f16_e32 v56, v32, v58
	v_lshrrev_b32_e32 v32, 16, v60
	v_fma_f16 v54, v51, v58, -v53
	v_lshrrev_b32_e32 v51, 16, v65
	v_lshrrev_b32_e32 v53, 16, v66
	v_fma_f16 v61, v50, v57, -v62
	v_mul_f16_e32 v57, v43, v31
	v_mul_f16_e32 v31, v28, v31
	;; [unrolled: 1-line block ×7, first 2 shown]
	v_fmac_f16_e32 v57, v28, v59
	v_fma_f16 v64, v43, v59, -v31
	v_fma_f16 v63, v45, v60, -v32
	v_fmac_f16_e32 v50, v27, v65
	v_fma_f16 v59, v42, v65, -v62
	v_lshrrev_b32_e32 v32, 16, v71
	v_lshrrev_b32_e32 v65, 16, v72
	v_mul_f16_e32 v53, v29, v53
	v_add_f16_e32 v74, v55, v56
	v_fmac_f16_e32 v51, v29, v66
	v_lshrrev_b32_e32 v28, 16, v67
	v_lshrrev_b32_e32 v29, 16, v68
	v_fmac_f16_e32 v58, v30, v60
	v_lshrrev_b32_e32 v30, 16, v69
	v_lshrrev_b32_e32 v31, 16, v70
	v_add_f16_e32 v73, v21, v55
	v_mul_f16_e32 v43, v17, v32
	v_mul_f16_e32 v45, v16, v65
	v_sub_f16_e32 v75, v61, v54
	v_fmac_f16_e32 v21, -0.5, v74
	v_mul_f16_e32 v60, v24, v28
	v_mul_f16_e32 v62, v39, v29
	v_fma_f16 v53, v44, v66, -v53
	v_mul_f16_e32 v42, v41, v30
	v_mul_f16_e32 v44, v38, v31
	v_add_f16_e32 v27, v73, v56
	v_mul_f16_e32 v29, v25, v29
	v_mul_f16_e32 v30, v26, v30
	;; [unrolled: 1-line block ×4, first 2 shown]
	v_fmac_f16_e32 v43, v12, v71
	v_fmac_f16_e32 v45, v13, v72
	v_fmamk_f16 v66, v75, 0xbaee, v21
	v_add_f16_e32 v74, v57, v58
	v_mul_f16_e32 v28, v22, v28
	v_fmac_f16_e32 v60, v22, v67
	v_fmac_f16_e32 v62, v25, v68
	;; [unrolled: 1-line block ×3, first 2 shown]
	v_add_f16_e32 v77, v50, v51
	v_mul_f16_e32 v31, v23, v31
	v_fmac_f16_e32 v42, v26, v69
	v_fmac_f16_e32 v44, v23, v70
	v_add_f16_e32 v73, v20, v57
	ds_store_b16 v11, v27
	ds_store_b16 v11, v66 offset:320
	ds_store_b16 v11, v21 offset:640
	v_fma_f16 v65, v39, v68, -v29
	v_fma_f16 v39, v41, v69, -v30
	;; [unrolled: 1-line block ×4, first 2 shown]
	v_add_f16_e32 v27, v43, v45
	v_sub_f16_e32 v75, v64, v63
	v_fmac_f16_e32 v20, -0.5, v74
	v_fma_f16 v66, v24, v67, -v28
	v_add_f16_e32 v21, v60, v62
	v_add_f16_e32 v76, v19, v50
	v_sub_f16_e32 v78, v59, v53
	v_fmac_f16_e32 v19, -0.5, v77
	v_fma_f16 v38, v38, v70, -v31
	v_add_f16_e32 v24, v42, v44
	v_add_f16_e32 v73, v73, v58
	;; [unrolled: 1-line block ×4, first 2 shown]
	v_sub_f16_e32 v28, v41, v16
	v_fmac_f16_e32 v10, -0.5, v27
	v_fmamk_f16 v12, v75, 0xbaee, v20
	v_sub_f16_e32 v22, v66, v65
	v_fmac_f16_e32 v2, -0.5, v21
	v_fmac_f16_e32 v20, 0x3aee, v75
	v_add_f16_e32 v74, v76, v51
	v_add_f16_e32 v23, v18, v42
	v_fmamk_f16 v13, v78, 0xbaee, v19
	v_sub_f16_e32 v25, v39, v38
	v_fmac_f16_e32 v18, -0.5, v24
	v_fmac_f16_e32 v19, 0x3aee, v78
	ds_store_b16 v48, v73
	ds_store_b16 v48, v12 offset:320
	ds_store_b16 v48, v20 offset:640
	;; [unrolled: 1-line block ×5, first 2 shown]
	v_add_f16_e32 v17, v17, v62
	v_add_f16_e32 v12, v26, v45
	v_fmamk_f16 v13, v28, 0xbaee, v10
	v_fmac_f16_e32 v10, 0x3aee, v28
	v_fmamk_f16 v20, v22, 0xbaee, v2
	v_fmac_f16_e32 v2, 0x3aee, v22
	v_add_f16_e32 v19, v23, v44
	v_fmamk_f16 v21, v25, 0xbaee, v18
	v_fmac_f16_e32 v18, 0x3aee, v25
	ds_store_b16 v52, v17
	ds_store_b16 v52, v20 offset:320
	ds_store_b16 v52, v2 offset:640
	;; [unrolled: 1-line block ×5, first 2 shown]
	s_and_saveexec_b32 s1, s0
	s_cbranch_execz .LBB0_25
; %bb.24:
	ds_store_b16 v47, v12 offset:1920
	ds_store_b16 v47, v13 offset:2240
	;; [unrolled: 1-line block ×3, first 2 shown]
.LBB0_25:
	s_wait_alu 0xfffe
	s_or_b32 exec_lo, exec_lo, s1
	global_wb scope:SCOPE_SE
	s_wait_dscnt 0x0
	s_barrier_signal -1
	s_barrier_wait -1
	global_inv scope:SCOPE_SE
	ds_load_u16 v21, v11 offset:1140
	ds_load_u16 v25, v11 offset:1320
	ds_load_u16 v19, v11
	ds_load_u16 v17, v11 offset:180
	ds_load_u16 v20, v11 offset:360
	ds_load_u16 v23, v11 offset:540
	ds_load_u16 v29, v11 offset:1500
	ds_load_u16 v24, v11 offset:960
	ds_load_u16 v28, v11 offset:720
	ds_load_u16 v22, v11 offset:2100
	ds_load_u16 v27, v11 offset:2280
	ds_load_u16 v30, v11 offset:2460
	ds_load_u16 v31, v11 offset:2640
	ds_load_u16 v26, v11 offset:1920
	ds_load_u16 v32, v11 offset:1680
	s_and_saveexec_b32 s1, s0
	s_cbranch_execz .LBB0_27
; %bb.26:
	ds_load_u16 v12, v11 offset:900
	ds_load_u16 v13, v11 offset:1860
	;; [unrolled: 1-line block ×3, first 2 shown]
.LBB0_27:
	s_wait_alu 0xfffe
	s_or_b32 exec_lo, exec_lo, s1
	v_add_f16_e32 v2, v61, v54
	v_sub_f16_e32 v55, v55, v56
	v_add_f16_e32 v56, v64, v63
	v_add_f16_e32 v18, v37, v61
	v_sub_f16_e32 v57, v57, v58
	v_fmac_f16_e32 v37, -0.5, v2
	v_add_f16_e32 v2, v36, v64
	v_fmac_f16_e32 v36, -0.5, v56
	v_add_f16_e32 v54, v18, v54
	v_add_f16_e32 v18, v59, v53
	v_fmamk_f16 v56, v55, 0x3aee, v37
	v_fmac_f16_e32 v37, 0xbaee, v55
	v_fmamk_f16 v55, v57, 0x3aee, v36
	v_add_f16_e32 v58, v34, v59
	v_fmac_f16_e32 v36, 0xbaee, v57
	v_add_f16_e32 v57, v66, v65
	v_fmac_f16_e32 v34, -0.5, v18
	v_sub_f16_e32 v18, v50, v51
	v_add_f16_e32 v50, v58, v53
	v_add_f16_e32 v51, v3, v66
	v_fmac_f16_e32 v3, -0.5, v57
	v_sub_f16_e32 v53, v60, v62
	v_fmamk_f16 v57, v18, 0x3aee, v34
	v_fmac_f16_e32 v34, 0xbaee, v18
	v_add_f16_e32 v18, v39, v38
	v_add_f16_e32 v39, v35, v39
	v_fmamk_f16 v58, v53, 0x3aee, v3
	v_fmac_f16_e32 v3, 0xbaee, v53
	v_add_f16_e32 v53, v41, v16
	v_fmac_f16_e32 v35, -0.5, v18
	v_sub_f16_e32 v18, v42, v44
	v_add_f16_e32 v41, v14, v41
	v_sub_f16_e32 v42, v43, v45
	v_fmac_f16_e32 v14, -0.5, v53
	v_add_f16_e32 v38, v39, v38
	v_fmamk_f16 v39, v18, 0x3aee, v35
	v_fmac_f16_e32 v35, 0xbaee, v18
	v_add_f16_e32 v16, v41, v16
	v_fmamk_f16 v18, v42, 0x3aee, v14
	v_fmac_f16_e32 v14, 0xbaee, v42
	v_add_f16_e32 v2, v2, v63
	v_add_f16_e32 v51, v51, v65
	global_wb scope:SCOPE_SE
	s_wait_dscnt 0x0
	s_barrier_signal -1
	s_barrier_wait -1
	global_inv scope:SCOPE_SE
	ds_store_b16 v11, v54
	ds_store_b16 v11, v56 offset:320
	ds_store_b16 v11, v37 offset:640
	ds_store_b16 v48, v2
	ds_store_b16 v48, v55 offset:320
	ds_store_b16 v48, v36 offset:640
	;; [unrolled: 1-line block ×5, first 2 shown]
	ds_store_b16 v52, v51
	ds_store_b16 v52, v58 offset:320
	ds_store_b16 v52, v3 offset:640
	;; [unrolled: 1-line block ×5, first 2 shown]
	s_and_saveexec_b32 s1, s0
	s_cbranch_execz .LBB0_29
; %bb.28:
	ds_store_b16 v47, v16 offset:1920
	ds_store_b16 v47, v18 offset:2240
	;; [unrolled: 1-line block ×3, first 2 shown]
.LBB0_29:
	s_wait_alu 0xfffe
	s_or_b32 exec_lo, exec_lo, s1
	global_wb scope:SCOPE_SE
	s_wait_dscnt 0x0
	s_barrier_signal -1
	s_barrier_wait -1
	global_inv scope:SCOPE_SE
	ds_load_u16 v37, v11 offset:1140
	ds_load_u16 v42, v11 offset:1320
	ds_load_u16 v35, v11
	ds_load_u16 v34, v11 offset:180
	ds_load_u16 v36, v11 offset:360
	ds_load_u16 v39, v11 offset:540
	ds_load_u16 v46, v11 offset:1500
	ds_load_u16 v41, v11 offset:960
	ds_load_u16 v45, v11 offset:720
	ds_load_u16 v38, v11 offset:2100
	ds_load_u16 v44, v11 offset:2280
	ds_load_u16 v47, v11 offset:2460
	ds_load_u16 v48, v11 offset:2640
	ds_load_u16 v43, v11 offset:1920
	ds_load_u16 v49, v11 offset:1680
	s_and_saveexec_b32 s1, s0
	s_cbranch_execz .LBB0_31
; %bb.30:
	ds_load_u16 v16, v11 offset:900
	ds_load_u16 v18, v11 offset:1860
	;; [unrolled: 1-line block ×3, first 2 shown]
.LBB0_31:
	s_wait_alu 0xfffe
	s_or_b32 exec_lo, exec_lo, s1
	s_and_saveexec_b32 s1, vcc_lo
	s_cbranch_execz .LBB0_34
; %bb.32:
	v_dual_mov_b32 v3, 0 :: v_dual_lshlrev_b32 v2, 1, v40
	v_mul_lo_u32 v11, s2, v7
	v_add_nc_u32_e32 v40, 0xb4, v8
	v_add_nc_u32_e32 v64, 0x168, v8
	s_delay_alu instid0(VALU_DEP_4) | instskip(SKIP_4) | instid1(VALU_DEP_3)
	v_dual_mov_b32 v63, v3 :: v_dual_add_nc_u32 v60, 0x10e, v8
	v_lshlrev_b64_e32 v[50:51], 2, v[2:3]
	v_dual_mov_b32 v7, v3 :: v_dual_lshlrev_b32 v2, 1, v33
	v_dual_mov_b32 v62, v3 :: v_dual_add_nc_u32 v33, 0x5a, v8
	v_mul_hi_u32 v66, 0x88888889, v40
	v_lshlrev_b64_e32 v[52:53], 2, v[2:3]
	v_lshl_add_u32 v2, v8, 1, 0x168
	v_add_co_u32 v50, vcc_lo, s4, v50
	s_wait_alu 0xfffd
	v_add_co_ci_u32_e32 v51, vcc_lo, s5, v51, vcc_lo
	s_delay_alu instid0(VALU_DEP_3) | instskip(SKIP_4) | instid1(VALU_DEP_4)
	v_lshlrev_b64_e32 v[54:55], 2, v[2:3]
	v_add_co_u32 v52, vcc_lo, s4, v52
	s_wait_alu 0xfffd
	v_add_co_ci_u32_e32 v53, vcc_lo, s5, v53, vcc_lo
	v_dual_mov_b32 v61, v3 :: v_dual_lshlrev_b32 v2, 1, v9
	v_add_co_u32 v54, vcc_lo, s4, v54
	s_wait_alu 0xfffd
	v_add_co_ci_u32_e32 v55, vcc_lo, s5, v55, vcc_lo
	s_clause 0x3
	global_load_b64 v[50:51], v[50:51], off offset:1880
	global_load_b64 v[52:53], v[52:53], off offset:1880
	;; [unrolled: 1-line block ×4, first 2 shown]
	v_lshlrev_b64_e32 v[0:1], 2, v[2:3]
	v_mul_lo_u32 v9, s3, v6
	v_mul_hi_u32 v65, 0x88888889, v33
	v_lshrrev_b32_e32 v70, 8, v66
	v_mul_hi_u32 v67, 0x88888889, v60
	v_lshlrev_b64_e32 v[4:5], 2, v[4:5]
	v_add_co_u32 v0, vcc_lo, s4, v0
	s_wait_alu 0xfffd
	v_add_co_ci_u32_e32 v1, vcc_lo, s5, v1, vcc_lo
	v_mul_u32_u24_e32 v66, 0x1e0, v70
	v_lshrrev_b32_e32 v76, 8, v67
	global_load_b64 v[58:59], v[0:1], off offset:1880
	v_mad_co_u64_u32 v[1:2], null, s2, v6, 0
	v_mul_hi_u32 v6, 0x88888889, v8
	v_sub_nc_u32_e32 v40, v40, v66
	v_mul_u32_u24_e32 v67, 0x1e0, v76
	v_add_nc_u32_e32 v0, 0x1c2, v8
	v_add3_u32 v2, v2, v11, v9
	v_lshrrev_b32_e32 v11, 8, v65
	v_mul_hi_u32 v9, 0x88888889, v64
	v_lshrrev_b32_e32 v6, 8, v6
	v_sub_nc_u32_e32 v77, v60, v67
	v_lshlrev_b64_e32 v[1:2], 2, v[1:2]
	v_mul_u32_u24_e32 v65, 0x1e0, v11
	v_cmp_gt_u32_e32 vcc_lo, 0x1e0, v0
	v_mul_u32_u24_e32 v6, 0x1e0, v6
	v_lshrrev_b32_e32 v9, 8, v9
	v_add_co_u32 v1, s1, s10, v1
	s_wait_alu 0xf1fe
	v_add_co_ci_u32_e64 v69, s1, s11, v2, s1
	v_sub_nc_u32_e32 v2, v33, v65
	v_sub_nc_u32_e32 v6, v8, v6
	v_mul_u32_u24_e32 v68, 0x1e0, v9
	v_add_co_u32 v4, s1, v1, v4
	s_delay_alu instid0(VALU_DEP_4) | instskip(NEXT) | instid1(VALU_DEP_4)
	v_mad_u32_u24 v2, 0x5a0, v11, v2
	v_lshlrev_b32_e32 v33, 2, v6
	s_delay_alu instid0(VALU_DEP_4)
	v_sub_nc_u32_e32 v80, v64, v68
	s_wait_alu 0xf1ff
	v_add_co_ci_u32_e64 v5, s1, v69, v5, s1
	v_lshlrev_b64_e32 v[64:65], 2, v[2:3]
	v_add_nc_u32_e32 v6, 0x1e0, v2
	v_add_nc_u32_e32 v2, 0x3c0, v2
	v_add_co_u32 v66, s1, v4, v33
	s_wait_alu 0xf1ff
	v_add_co_ci_u32_e64 v67, s1, 0, v5, s1
	s_delay_alu instid0(VALU_DEP_3)
	v_lshlrev_b64_e32 v[68:69], 2, v[2:3]
	v_mad_u32_u24 v2, 0x5a0, v70, v40
	v_lshlrev_b64_e32 v[6:7], 2, v[6:7]
	v_add_co_u32 v64, s1, v4, v64
	s_wait_alu 0xf1ff
	v_add_co_ci_u32_e64 v65, s1, v5, v65, s1
	v_lshlrev_b64_e32 v[70:71], 2, v[2:3]
	v_add_nc_u32_e32 v60, 0x1e0, v2
	v_add_nc_u32_e32 v2, 0x3c0, v2
	v_add_co_u32 v6, s1, v4, v6
	s_wait_alu 0xf1ff
	v_add_co_ci_u32_e64 v7, s1, v5, v7, s1
	s_delay_alu instid0(VALU_DEP_3)
	v_lshlrev_b64_e32 v[74:75], 2, v[2:3]
	v_mad_u32_u24 v2, 0x5a0, v76, v77
	v_lshlrev_b64_e32 v[72:73], 2, v[60:61]
	v_add_co_u32 v68, s1, v4, v68
	s_wait_alu 0xf1ff
	v_add_co_ci_u32_e64 v69, s1, v5, v69, s1
	v_lshlrev_b64_e32 v[76:77], 2, v[2:3]
	v_add_nc_u32_e32 v61, 0x1e0, v2
	v_add_nc_u32_e32 v2, 0x3c0, v2
	v_add_co_u32 v70, s1, v4, v70
	s_wait_alu 0xf1ff
	v_add_co_ci_u32_e64 v71, s1, v5, v71, s1
	s_delay_alu instid0(VALU_DEP_3)
	v_lshlrev_b64_e32 v[78:79], 2, v[2:3]
	v_mad_u32_u24 v2, 0x5a0, v9, v80
	v_add_co_u32 v72, s1, v4, v72
	s_wait_alu 0xf1ff
	v_add_co_ci_u32_e64 v73, s1, v5, v73, s1
	v_add_co_u32 v74, s1, v4, v74
	v_lshlrev_b64_e32 v[60:61], 2, v[61:62]
	s_wait_alu 0xf1ff
	v_add_co_ci_u32_e64 v75, s1, v5, v75, s1
	v_add_co_u32 v76, s1, v4, v76
	v_add_nc_u32_e32 v62, 0x1e0, v2
	s_wait_alu 0xf1ff
	v_add_co_ci_u32_e64 v77, s1, v5, v77, s1
	v_lshlrev_b64_e32 v[80:81], 2, v[2:3]
	v_add_co_u32 v60, s1, v4, v60
	v_add_nc_u32_e32 v2, 0x3c0, v2
	s_wait_alu 0xf1ff
	v_add_co_ci_u32_e64 v61, s1, v5, v61, s1
	v_add_co_u32 v78, s1, v4, v78
	v_lshlrev_b64_e32 v[62:63], 2, v[62:63]
	s_wait_alu 0xf1ff
	v_add_co_ci_u32_e64 v79, s1, v5, v79, s1
	v_lshlrev_b64_e32 v[1:2], 2, v[2:3]
	v_add_co_u32 v80, s1, v4, v80
	s_wait_alu 0xf1ff
	v_add_co_ci_u32_e64 v81, s1, v5, v81, s1
	v_add_co_u32 v62, s1, v4, v62
	s_wait_alu 0xf1ff
	v_add_co_ci_u32_e64 v63, s1, v5, v63, s1
	;; [unrolled: 3-line block ×3, first 2 shown]
	s_wait_loadcnt 0x4
	v_lshrrev_b32_e32 v9, 16, v50
	v_lshrrev_b32_e32 v11, 16, v51
	s_wait_loadcnt 0x3
	v_lshrrev_b32_e32 v82, 16, v52
	v_lshrrev_b32_e32 v83, 16, v53
	v_mul_f16_e32 v33, v32, v9
	v_mul_f16_e32 v40, v31, v11
	s_wait_dscnt 0x0
	v_mul_f16_e32 v9, v49, v9
	v_mul_f16_e32 v11, v48, v11
	v_fma_f16 v33, v49, v50, -v33
	v_fma_f16 v40, v48, v51, -v40
	s_delay_alu instid0(VALU_DEP_4) | instskip(NEXT) | instid1(VALU_DEP_4)
	v_fmac_f16_e32 v9, v32, v50
	v_fmac_f16_e32 v11, v31, v51
	v_mul_f16_e32 v31, v29, v82
	v_mul_f16_e32 v32, v30, v83
	;; [unrolled: 1-line block ×4, first 2 shown]
	s_wait_loadcnt 0x2
	v_lshrrev_b32_e32 v50, 16, v54
	v_lshrrev_b32_e32 v51, 16, v55
	s_wait_loadcnt 0x1
	v_lshrrev_b32_e32 v82, 16, v56
	v_lshrrev_b32_e32 v83, 16, v57
	v_add_f16_e32 v84, v33, v40
	v_sub_f16_e32 v85, v9, v11
	v_add_f16_e32 v86, v9, v11
	v_sub_f16_e32 v87, v33, v40
	v_add_f16_e32 v33, v45, v33
	v_add_f16_e32 v9, v28, v9
	v_fma_f16 v31, v46, v52, -v31
	v_fma_f16 v32, v47, v53, -v32
	v_fmac_f16_e32 v48, v29, v52
	v_fmac_f16_e32 v49, v30, v53
	v_mul_f16_e32 v29, v25, v50
	v_mul_f16_e32 v30, v27, v51
	;; [unrolled: 1-line block ×4, first 2 shown]
	s_wait_loadcnt 0x0
	v_lshrrev_b32_e32 v50, 16, v58
	v_lshrrev_b32_e32 v51, 16, v59
	v_mul_f16_e32 v52, v24, v82
	v_mul_f16_e32 v53, v26, v83
	;; [unrolled: 1-line block ×4, first 2 shown]
	v_fma_f16 v45, -0.5, v84, v45
	v_fma_f16 v28, -0.5, v86, v28
	v_add_f16_e32 v33, v33, v40
	v_add_f16_e32 v9, v9, v11
	;; [unrolled: 1-line block ×3, first 2 shown]
	v_sub_f16_e32 v40, v48, v49
	v_add_f16_e32 v84, v48, v49
	v_sub_f16_e32 v86, v31, v32
	v_add_f16_e32 v31, v39, v31
	v_add_f16_e32 v48, v23, v48
	v_fma_f16 v29, v42, v54, -v29
	v_fma_f16 v30, v44, v55, -v30
	v_fmac_f16_e32 v46, v25, v54
	v_fmac_f16_e32 v47, v27, v55
	v_mul_f16_e32 v25, v21, v50
	v_mul_f16_e32 v27, v22, v51
	;; [unrolled: 1-line block ×4, first 2 shown]
	v_fma_f16 v41, v41, v56, -v52
	v_fma_f16 v43, v43, v57, -v53
	v_fmac_f16_e32 v82, v24, v56
	v_fmac_f16_e32 v83, v26, v57
	v_fma_f16 v11, -0.5, v11, v39
	v_add_f16_e32 v31, v31, v32
	v_add_f16_e32 v32, v48, v49
	;; [unrolled: 1-line block ×3, first 2 shown]
	v_sub_f16_e32 v48, v46, v47
	v_add_f16_e32 v49, v46, v47
	v_sub_f16_e32 v50, v29, v30
	v_add_f16_e32 v29, v36, v29
	v_add_f16_e32 v46, v20, v46
	v_fma_f16 v25, v37, v58, -v25
	v_fma_f16 v27, v38, v59, -v27
	v_fmac_f16_e32 v42, v21, v58
	v_fmac_f16_e32 v44, v22, v59
	v_add_f16_e32 v21, v41, v43
	v_add_f16_e32 v37, v82, v83
	v_fma_f16 v23, -0.5, v84, v23
	v_fma_f16 v36, -0.5, v39, v36
	v_add_f16_e32 v29, v29, v30
	v_add_f16_e32 v30, v46, v47
	;; [unrolled: 1-line block ×4, first 2 shown]
	v_sub_f16_e32 v38, v41, v43
	v_add_f16_e32 v41, v35, v41
	v_add_f16_e32 v51, v19, v82
	v_sub_f16_e32 v22, v82, v83
	v_fma_f16 v21, -0.5, v21, v35
	v_fma_f16 v19, -0.5, v37, v19
	v_pack_b32_f16 v9, v9, v33
	v_fmamk_f16 v33, v40, 0xbaee, v11
	v_fmac_f16_e32 v11, 0x3aee, v40
	v_sub_f16_e32 v40, v42, v44
	v_sub_f16_e32 v47, v25, v27
	v_add_f16_e32 v25, v34, v25
	v_add_f16_e32 v42, v17, v42
	v_fmamk_f16 v52, v86, 0x3aee, v23
	v_fmac_f16_e32 v23, 0xbaee, v86
	v_fma_f16 v34, -0.5, v39, v34
	v_fma_f16 v17, -0.5, v46, v17
	v_fmamk_f16 v24, v85, 0xbaee, v45
	v_fmamk_f16 v26, v87, 0x3aee, v28
	v_fma_f16 v20, -0.5, v49, v20
	v_add_f16_e32 v35, v41, v43
	v_add_f16_e32 v37, v51, v83
	v_fmamk_f16 v39, v22, 0xbaee, v21
	v_fmamk_f16 v41, v38, 0x3aee, v19
	v_fmac_f16_e32 v21, 0x3aee, v22
	v_fmac_f16_e32 v19, 0xbaee, v38
	v_add_f16_e32 v25, v25, v27
	v_add_f16_e32 v27, v42, v44
	v_pack_b32_f16 v29, v30, v29
	v_pack_b32_f16 v11, v23, v11
	;; [unrolled: 1-line block ×3, first 2 shown]
	v_fmamk_f16 v30, v40, 0xbaee, v34
	v_fmamk_f16 v33, v47, 0x3aee, v17
	v_fmac_f16_e32 v34, 0x3aee, v40
	v_fmac_f16_e32 v17, 0xbaee, v47
	;; [unrolled: 1-line block ×4, first 2 shown]
	v_pack_b32_f16 v31, v32, v31
	v_pack_b32_f16 v24, v26, v24
	v_fmamk_f16 v26, v48, 0xbaee, v36
	v_fmamk_f16 v32, v50, 0x3aee, v20
	v_fmac_f16_e32 v36, 0x3aee, v48
	v_fmac_f16_e32 v20, 0xbaee, v50
	v_pack_b32_f16 v22, v37, v35
	v_pack_b32_f16 v19, v19, v21
	;; [unrolled: 1-line block ×9, first 2 shown]
	s_clause 0xe
	global_store_b32 v[66:67], v22, off
	global_store_b32 v[66:67], v19, off offset:1920
	global_store_b32 v[66:67], v21, off offset:3840
	global_store_b32 v[64:65], v25, off
	global_store_b32 v[6:7], v17, off
	;; [unrolled: 1-line block ×12, first 2 shown]
	s_and_b32 exec_lo, exec_lo, vcc_lo
	s_cbranch_execz .LBB0_34
; %bb.33:
	v_subrev_nc_u32_e32 v1, 30, v8
	s_delay_alu instid0(VALU_DEP_1) | instskip(NEXT) | instid1(VALU_DEP_1)
	v_cndmask_b32_e64 v1, v1, v15, s0
	v_lshlrev_b32_e32 v2, 1, v1
	s_delay_alu instid0(VALU_DEP_1) | instskip(NEXT) | instid1(VALU_DEP_1)
	v_lshlrev_b64_e32 v[1:2], 2, v[2:3]
	v_add_co_u32 v1, vcc_lo, s4, v1
	s_wait_alu 0xfffd
	s_delay_alu instid0(VALU_DEP_2) | instskip(SKIP_2) | instid1(VALU_DEP_1)
	v_add_co_ci_u32_e32 v2, vcc_lo, s5, v2, vcc_lo
	global_load_b64 v[6:7], v[1:2], off offset:1880
	v_dual_mov_b32 v1, v3 :: v_dual_add_nc_u32 v2, 0x3a2, v8
	v_lshlrev_b64_e32 v[0:1], 2, v[0:1]
	s_delay_alu instid0(VALU_DEP_2) | instskip(SKIP_1) | instid1(VALU_DEP_3)
	v_lshlrev_b64_e32 v[19:20], 2, v[2:3]
	v_add_nc_u32_e32 v2, 0x582, v8
	v_add_co_u32 v0, vcc_lo, v4, v0
	s_delay_alu instid0(VALU_DEP_2)
	v_lshlrev_b64_e32 v[2:3], 2, v[2:3]
	s_wait_alu 0xfffd
	v_add_co_ci_u32_e32 v1, vcc_lo, v5, v1, vcc_lo
	s_wait_loadcnt 0x0
	v_lshrrev_b32_e32 v9, 16, v6
	v_lshrrev_b32_e32 v11, 16, v7
	s_delay_alu instid0(VALU_DEP_2) | instskip(SKIP_1) | instid1(VALU_DEP_3)
	v_mul_f16_e32 v8, v18, v9
	v_mul_f16_e32 v9, v13, v9
	;; [unrolled: 1-line block ×4, first 2 shown]
	s_delay_alu instid0(VALU_DEP_4) | instskip(NEXT) | instid1(VALU_DEP_4)
	v_fmac_f16_e32 v8, v13, v6
	v_fma_f16 v9, v18, v6, -v9
	s_delay_alu instid0(VALU_DEP_4) | instskip(NEXT) | instid1(VALU_DEP_4)
	v_fmac_f16_e32 v15, v10, v7
	v_fma_f16 v10, v14, v7, -v11
	v_add_co_u32 v6, vcc_lo, v4, v19
	v_add_f16_e32 v13, v12, v8
	s_delay_alu instid0(VALU_DEP_4) | instskip(NEXT) | instid1(VALU_DEP_4)
	v_add_f16_e32 v11, v8, v15
	v_add_f16_e32 v14, v9, v10
	v_sub_f16_e32 v17, v9, v10
	v_add_f16_e32 v9, v16, v9
	v_sub_f16_e32 v8, v8, v15
	v_fmac_f16_e32 v12, -0.5, v11
	v_fmac_f16_e32 v16, -0.5, v14
	v_add_f16_e32 v11, v13, v15
	v_add_f16_e32 v9, v9, v10
	s_wait_alu 0xfffd
	v_add_co_ci_u32_e32 v7, vcc_lo, v5, v20, vcc_lo
	v_fmamk_f16 v10, v17, 0xbaee, v12
	v_fmamk_f16 v13, v8, 0x3aee, v16
	v_fmac_f16_e32 v12, 0x3aee, v17
	v_fmac_f16_e32 v16, 0xbaee, v8
	v_add_co_u32 v2, vcc_lo, v4, v2
	v_pack_b32_f16 v4, v11, v9
	s_wait_alu 0xfffd
	v_add_co_ci_u32_e32 v3, vcc_lo, v5, v3, vcc_lo
	v_pack_b32_f16 v5, v10, v13
	v_pack_b32_f16 v8, v12, v16
	s_clause 0x2
	global_store_b32 v[0:1], v4, off
	global_store_b32 v[6:7], v5, off
	;; [unrolled: 1-line block ×3, first 2 shown]
.LBB0_34:
	s_nop 0
	s_sendmsg sendmsg(MSG_DEALLOC_VGPRS)
	s_endpgm
	.section	.rodata,"a",@progbits
	.p2align	6, 0x0
	.amdhsa_kernel fft_rtc_back_len1440_factors_10_16_3_3_wgs_90_tpt_90_halfLds_half_op_CI_CI_unitstride_sbrr_dirReg
		.amdhsa_group_segment_fixed_size 0
		.amdhsa_private_segment_fixed_size 0
		.amdhsa_kernarg_size 104
		.amdhsa_user_sgpr_count 2
		.amdhsa_user_sgpr_dispatch_ptr 0
		.amdhsa_user_sgpr_queue_ptr 0
		.amdhsa_user_sgpr_kernarg_segment_ptr 1
		.amdhsa_user_sgpr_dispatch_id 0
		.amdhsa_user_sgpr_private_segment_size 0
		.amdhsa_wavefront_size32 1
		.amdhsa_uses_dynamic_stack 0
		.amdhsa_enable_private_segment 0
		.amdhsa_system_sgpr_workgroup_id_x 1
		.amdhsa_system_sgpr_workgroup_id_y 0
		.amdhsa_system_sgpr_workgroup_id_z 0
		.amdhsa_system_sgpr_workgroup_info 0
		.amdhsa_system_vgpr_workitem_id 0
		.amdhsa_next_free_vgpr 89
		.amdhsa_next_free_sgpr 39
		.amdhsa_reserve_vcc 1
		.amdhsa_float_round_mode_32 0
		.amdhsa_float_round_mode_16_64 0
		.amdhsa_float_denorm_mode_32 3
		.amdhsa_float_denorm_mode_16_64 3
		.amdhsa_fp16_overflow 0
		.amdhsa_workgroup_processor_mode 1
		.amdhsa_memory_ordered 1
		.amdhsa_forward_progress 0
		.amdhsa_round_robin_scheduling 0
		.amdhsa_exception_fp_ieee_invalid_op 0
		.amdhsa_exception_fp_denorm_src 0
		.amdhsa_exception_fp_ieee_div_zero 0
		.amdhsa_exception_fp_ieee_overflow 0
		.amdhsa_exception_fp_ieee_underflow 0
		.amdhsa_exception_fp_ieee_inexact 0
		.amdhsa_exception_int_div_zero 0
	.end_amdhsa_kernel
	.text
.Lfunc_end0:
	.size	fft_rtc_back_len1440_factors_10_16_3_3_wgs_90_tpt_90_halfLds_half_op_CI_CI_unitstride_sbrr_dirReg, .Lfunc_end0-fft_rtc_back_len1440_factors_10_16_3_3_wgs_90_tpt_90_halfLds_half_op_CI_CI_unitstride_sbrr_dirReg
                                        ; -- End function
	.section	.AMDGPU.csdata,"",@progbits
; Kernel info:
; codeLenInByte = 11244
; NumSgprs: 41
; NumVgprs: 89
; ScratchSize: 0
; MemoryBound: 0
; FloatMode: 240
; IeeeMode: 1
; LDSByteSize: 0 bytes/workgroup (compile time only)
; SGPRBlocks: 5
; VGPRBlocks: 11
; NumSGPRsForWavesPerEU: 41
; NumVGPRsForWavesPerEU: 89
; Occupancy: 16
; WaveLimiterHint : 1
; COMPUTE_PGM_RSRC2:SCRATCH_EN: 0
; COMPUTE_PGM_RSRC2:USER_SGPR: 2
; COMPUTE_PGM_RSRC2:TRAP_HANDLER: 0
; COMPUTE_PGM_RSRC2:TGID_X_EN: 1
; COMPUTE_PGM_RSRC2:TGID_Y_EN: 0
; COMPUTE_PGM_RSRC2:TGID_Z_EN: 0
; COMPUTE_PGM_RSRC2:TIDIG_COMP_CNT: 0
	.text
	.p2alignl 7, 3214868480
	.fill 96, 4, 3214868480
	.type	__hip_cuid_249294da803ab5b5,@object ; @__hip_cuid_249294da803ab5b5
	.section	.bss,"aw",@nobits
	.globl	__hip_cuid_249294da803ab5b5
__hip_cuid_249294da803ab5b5:
	.byte	0                               ; 0x0
	.size	__hip_cuid_249294da803ab5b5, 1

	.ident	"AMD clang version 19.0.0git (https://github.com/RadeonOpenCompute/llvm-project roc-6.4.0 25133 c7fe45cf4b819c5991fe208aaa96edf142730f1d)"
	.section	".note.GNU-stack","",@progbits
	.addrsig
	.addrsig_sym __hip_cuid_249294da803ab5b5
	.amdgpu_metadata
---
amdhsa.kernels:
  - .args:
      - .actual_access:  read_only
        .address_space:  global
        .offset:         0
        .size:           8
        .value_kind:     global_buffer
      - .offset:         8
        .size:           8
        .value_kind:     by_value
      - .actual_access:  read_only
        .address_space:  global
        .offset:         16
        .size:           8
        .value_kind:     global_buffer
      - .actual_access:  read_only
        .address_space:  global
        .offset:         24
        .size:           8
        .value_kind:     global_buffer
      - .actual_access:  read_only
        .address_space:  global
        .offset:         32
        .size:           8
        .value_kind:     global_buffer
      - .offset:         40
        .size:           8
        .value_kind:     by_value
      - .actual_access:  read_only
        .address_space:  global
        .offset:         48
        .size:           8
        .value_kind:     global_buffer
      - .actual_access:  read_only
        .address_space:  global
        .offset:         56
        .size:           8
        .value_kind:     global_buffer
      - .offset:         64
        .size:           4
        .value_kind:     by_value
      - .actual_access:  read_only
        .address_space:  global
        .offset:         72
        .size:           8
        .value_kind:     global_buffer
      - .actual_access:  read_only
        .address_space:  global
        .offset:         80
        .size:           8
        .value_kind:     global_buffer
      - .actual_access:  read_only
        .address_space:  global
        .offset:         88
        .size:           8
        .value_kind:     global_buffer
      - .actual_access:  write_only
        .address_space:  global
        .offset:         96
        .size:           8
        .value_kind:     global_buffer
    .group_segment_fixed_size: 0
    .kernarg_segment_align: 8
    .kernarg_segment_size: 104
    .language:       OpenCL C
    .language_version:
      - 2
      - 0
    .max_flat_workgroup_size: 90
    .name:           fft_rtc_back_len1440_factors_10_16_3_3_wgs_90_tpt_90_halfLds_half_op_CI_CI_unitstride_sbrr_dirReg
    .private_segment_fixed_size: 0
    .sgpr_count:     41
    .sgpr_spill_count: 0
    .symbol:         fft_rtc_back_len1440_factors_10_16_3_3_wgs_90_tpt_90_halfLds_half_op_CI_CI_unitstride_sbrr_dirReg.kd
    .uniform_work_group_size: 1
    .uses_dynamic_stack: false
    .vgpr_count:     89
    .vgpr_spill_count: 0
    .wavefront_size: 32
    .workgroup_processor_mode: 1
amdhsa.target:   amdgcn-amd-amdhsa--gfx1201
amdhsa.version:
  - 1
  - 2
...

	.end_amdgpu_metadata
